;; amdgpu-corpus repo=zjin-lcf/HeCBench kind=compiled arch=gfx90a opt=O3
	.text
	.amdgcn_target "amdgcn-amd-amdhsa--gfx90a"
	.amdhsa_code_object_version 6
	.protected	_Z9secp256k1PK20secp256k1_ge_storagePh ; -- Begin function _Z9secp256k1PK20secp256k1_ge_storagePh
	.globl	_Z9secp256k1PK20secp256k1_ge_storagePh
	.p2align	8
	.type	_Z9secp256k1PK20secp256k1_ge_storagePh,@function
_Z9secp256k1PK20secp256k1_ge_storagePh: ; @_Z9secp256k1PK20secp256k1_ge_storagePh
; %bb.0:
	s_load_dwordx4 s[0:3], s[4:5], 0x0
                                        ; implicit-def: $vgpr15 : SGPR spill to VGPR lane
	s_mov_b32 s25, 0
	s_mov_b32 s88, 1
	;; [unrolled: 1-line block ×3, first 2 shown]
	s_mov_b64 s[58:59], 0
	s_waitcnt lgkmcnt(0)
	v_writelane_b32 v15, s0, 0
	v_writelane_b32 v15, s1, 1
	v_writelane_b32 v15, s2, 2
	v_writelane_b32 v15, s3, 3
	s_load_dwordx16 s[0:15], s[0:1], 0x0
	s_mov_b32 s93, s25
	s_mov_b32 s94, s25
	;; [unrolled: 1-line block ×4, first 2 shown]
	s_waitcnt lgkmcnt(0)
	v_mov_b32_e32 v0, s1
	v_alignbit_b32 v0, s2, v0, 20
	s_and_b32 s50, s0, 0x3ffffff
	v_mov_b32_e32 v1, s0
	v_readfirstlane_b32 s0, v0
	v_mov_b32_e32 v0, s2
	v_alignbit_b32 v0, s3, v0, 14
	s_and_b32 s54, s0, 0x3ffffff
	v_readfirstlane_b32 s0, v0
	v_mov_b32_e32 v0, s5
	v_alignbit_b32 v0, s6, v0, 22
	s_and_b32 s48, s0, 0x3ffffff
	;; [unrolled: 4-line block ×9, first 2 shown]
	v_readfirstlane_b32 s0, v0
	v_mov_b32_e32 v0, s12
	v_alignbit_b32 v0, s13, v0, 28
	v_mov_b32_e32 v2, s3
	s_and_b32 s68, s0, 0x3ffffff
	v_readfirstlane_b32 s0, v0
	v_mov_b32_e32 v0, s14
	v_alignbit_b32 v1, s1, v1, 26
	v_alignbit_b32 v2, s4, v2, 8
	;; [unrolled: 1-line block ×3, first 2 shown]
	v_readfirstlane_b32 s1, v1
	v_readfirstlane_b32 s16, v2
	s_and_b32 s69, s0, 0x3ffffff
	v_readfirstlane_b32 s0, v0
	s_and_b32 s53, s1, 0x3ffffff
	s_and_b32 s47, s16, 0x3ffffff
	s_bfe_u32 s49, s4, 0x1a0002
	s_lshr_b32 s62, s7, 10
	s_and_b32 s34, s8, 0x3ffffff
	s_bfe_u32 s89, s12, 0x1a0002
	s_and_b32 s70, s0, 0x3ffffff
	s_lshr_b32 s71, s15, 10
	s_mov_b64 s[4:5], 0
	s_mov_b32 s60, s25
	s_mov_b32 s84, s25
	s_mov_b64 s[64:65], 0
	s_mov_b32 s40, 1
	s_mov_b32 s39, 0
	;; [unrolled: 1-line block ×9, first 2 shown]
	s_mov_b64 s[28:29], 0
.LBB0_1:                                ; =>This Inner Loop Header: Depth=1
	v_writelane_b32 v15, s95, 24
	v_writelane_b32 v15, s94, 25
	;; [unrolled: 1-line block ×10, first 2 shown]
                                        ; implicit-def: $vgpr14 : SGPR spill to VGPR lane
	v_readlane_b32 s0, v15, 0
	v_writelane_b32 v14, s4, 7
	v_readlane_b32 s1, v15, 1
	s_add_u32 s0, s0, s4
	v_readlane_b32 s2, v15, 2
	v_readlane_b32 s3, v15, 3
	s_addc_u32 s1, s1, s5
	v_writelane_b32 v14, s5, 8
	s_load_dwordx16 s[0:15], s[0:1], 0x40
	s_lshl_b32 s21, s40, 1
	s_lshl_b32 s60, s30, 1
	;; [unrolled: 1-line block ×3, first 2 shown]
	s_mul_i32 s19, s29, s21
	s_waitcnt lgkmcnt(0)
	v_mov_b32_e32 v0, s0
	v_mov_b32_e32 v1, s1
	;; [unrolled: 1-line block ×14, first 2 shown]
	v_alignbit_b32 v0, s1, v0, 26
	v_alignbit_b32 v1, s2, v1, 20
	;; [unrolled: 1-line block ×14, first 2 shown]
	s_mul_hi_u32 s22, s28, s21
	s_bfe_u32 s16, s4, 0x1a0002
	s_lshr_b32 s20, s7, 10
	s_and_b32 s64, s8, 0x3ffffff
	v_readfirstlane_b32 s3, v0
	v_readfirstlane_b32 s4, v1
	v_readfirstlane_b32 s5, v2
	v_readfirstlane_b32 s6, v3
	v_readfirstlane_b32 s7, v4
	v_readfirstlane_b32 s8, v5
	v_readfirstlane_b32 s9, v6
	v_readfirstlane_b32 s10, v7
	v_readfirstlane_b32 s11, v8
	v_readfirstlane_b32 s67, v9
	v_readfirstlane_b32 s72, v10
	v_readfirstlane_b32 s74, v11
	v_readfirstlane_b32 s82, v12
	v_readfirstlane_b32 s83, v13
	s_lshl_b32 s56, s39, 1
	s_lshl_b32 s57, s38, 1
	s_mul_i32 s78, s60, s45
	s_mul_i32 s79, s58, s44
	s_and_b32 s18, s0, 0x3ffffff
	s_bfe_u32 s65, s12, 0x1a0002
	s_lshr_b32 s66, s15, 10
	s_add_i32 s2, s22, s19
	s_and_b32 s23, s3, 0x3ffffff
	s_and_b32 s22, s4, 0x3ffffff
	;; [unrolled: 1-line block ×14, first 2 shown]
	s_mul_hi_u32 s63, s60, s45
	s_mul_hi_u32 s80, s58, s44
	s_add_u32 s3, s78, s79
	s_mul_i32 s81, s57, s46
	s_addc_u32 s5, s63, s80
	s_mul_hi_u32 s0, s57, s46
	s_add_u32 s3, s3, s81
	s_mul_i32 s1, s56, s36
	s_addc_u32 s0, s5, s0
	;; [unrolled: 4-line block ×3, first 2 shown]
	s_add_u32 s0, s1, s27
	s_mul_i32 s6, s29, s56
	s_mul_hi_u32 s7, s28, s56
	s_addc_u32 s1, s4, s2
	s_mul_i32 s33, s44, s44
	s_mul_i32 s5, s58, s45
	s_add_i32 s7, s7, s6
	s_and_b32 s10, s0, 0x3ffffff
	s_lshr_b64 s[0:1], s[0:1], 26
	s_mul_hi_u32 s24, s44, s44
	s_mul_hi_u32 s3, s58, s45
	s_add_u32 s5, s5, s33
	s_mul_i32 s8, s60, s46
	s_addc_u32 s3, s3, s24
	s_mul_hi_u32 s2, s60, s46
	s_add_u32 s5, s5, s8
	s_mul_i32 s4, s57, s36
	s_addc_u32 s2, s3, s2
	;; [unrolled: 4-line block ×3, first 2 shown]
	s_add_u32 s3, s3, s9
	s_addc_u32 s2, s2, s7
	s_add_u32 s0, s3, s0
	s_addc_u32 s1, s2, s1
	s_and_b32 s24, s0, 0x3ffffff
	s_mul_i32 s26, s40, s40
	s_lshr_b64 s[0:1], s[0:1], 26
	s_mul_i32 s2, s24, 0x3d10
	s_mul_hi_u32 s17, s40, s40
	s_mul_hi_u32 s3, s24, 0x3d10
	s_add_u32 s2, s2, s26
	s_mul_i32 s8, s29, s57
	s_mul_hi_u32 s11, s28, s57
	s_addc_u32 s3, s3, s17
	s_lshl_b32 s4, s44, 1
	s_mul_i32 s5, s58, s46
	s_add_i32 s11, s11, s8
	s_and_b32 s8, s2, 0x3fffffd
	s_lshl_b64 s[6:7], s[24:25], 10
	s_lshr_b64 s[2:3], s[2:3], 26
	s_mul_i32 s9, s4, s45
	s_mul_hi_u32 s27, s58, s46
	s_add_u32 s5, s5, s9
	s_mul_hi_u32 s9, s4, s45
	s_addc_u32 s9, s27, s9
	s_mul_i32 s17, s60, s36
	s_add_u32 s5, s5, s17
	s_mul_hi_u32 s17, s60, s36
	s_addc_u32 s9, s9, s17
	s_mul_i32 s17, s28, s57
	s_add_u32 s5, s5, s17
	s_addc_u32 s9, s9, s11
	s_add_u32 s0, s5, s0
	s_addc_u32 s1, s9, s1
	s_mul_i32 s5, s21, s39
	s_and_b32 s24, s0, 0x3ffffff
	s_lshr_b64 s[0:1], s[0:1], 26
	s_mul_hi_u32 s9, s21, s39
	s_add_u32 s5, s6, s5
	s_addc_u32 s6, s7, s9
	s_add_u32 s2, s5, s2
	s_addc_u32 s3, s6, s3
	s_mul_i32 s5, s24, 0x3d10
	s_mul_hi_u32 s6, s24, 0x3d10
	s_add_u32 s2, s2, s5
	s_mul_i32 s11, s29, s60
	s_mul_hi_u32 s7, s28, s60
	s_addc_u32 s3, s3, s6
	s_mul_i32 s59, s45, s45
	s_mul_i32 s26, s4, s46
	s_add_i32 s5, s7, s11
	s_and_b32 s9, s2, 0x3ffffff
	s_lshl_b64 s[6:7], s[24:25], 10
	s_lshr_b64 s[2:3], s[2:3], 26
	s_mul_hi_u32 s61, s45, s45
	s_add_u32 s11, s26, s59
	s_mul_hi_u32 s24, s4, s46
	s_addc_u32 s24, s24, s61
	s_mul_i32 s26, s58, s36
	s_add_u32 s11, s11, s26
	s_mul_hi_u32 s26, s58, s36
	s_addc_u32 s24, s24, s26
	s_mul_i32 s26, s28, s60
	s_add_u32 s11, s11, s26
	s_addc_u32 s5, s24, s5
	s_add_u32 s0, s11, s0
	s_addc_u32 s1, s5, s1
	s_mul_i32 s17, s39, s39
	s_mul_i32 s5, s21, s38
	s_and_b32 s24, s0, 0x3ffffff
	s_lshr_b64 s[0:1], s[0:1], 26
	s_mul_hi_u32 s26, s39, s39
	s_mul_hi_u32 s11, s21, s38
	s_add_u32 s5, s5, s17
	s_addc_u32 s11, s11, s26
	s_add_u32 s5, s5, s6
	s_addc_u32 s6, s11, s7
	s_mul_i32 s7, s24, 0x3d10
	s_mul_hi_u32 s11, s24, 0x3d10
	s_add_u32 s5, s5, s7
	s_addc_u32 s6, s6, s11
	s_add_u32 s2, s5, s2
	s_mul_i32 s27, s29, s58
	s_mul_hi_u32 s17, s28, s58
	s_addc_u32 s3, s6, s3
	s_lshl_b32 s5, s45, 1
	s_mul_i32 s26, s4, s36
	s_add_i32 s17, s17, s27
	s_and_b32 s11, s2, 0x3ffffff
	s_lshl_b64 s[6:7], s[24:25], 10
	s_lshr_b64 s[2:3], s[2:3], 26
	s_mul_i32 s24, s5, s46
	s_add_u32 s24, s26, s24
	s_mul_hi_u32 s26, s4, s36
	s_mul_hi_u32 s27, s5, s46
	s_addc_u32 s26, s26, s27
	s_mul_i32 s27, s28, s58
	s_add_u32 s24, s24, s27
	s_addc_u32 s17, s26, s17
	s_add_u32 s0, s24, s0
	s_addc_u32 s1, s17, s1
	s_mul_i32 s17, s21, s30
	s_mul_i32 s26, s56, s38
	s_and_b32 s24, s0, 0x3ffffff
	s_lshr_b64 s[0:1], s[0:1], 26
	s_mul_hi_u32 s33, s21, s30
	s_add_u32 s17, s17, s26
	s_mul_hi_u32 s26, s56, s38
	s_addc_u32 s26, s33, s26
	s_add_u32 s6, s17, s6
	s_addc_u32 s7, s26, s7
	s_mul_i32 s26, s24, 0x3d10
	s_add_u32 s6, s6, s26
	s_mul_hi_u32 s26, s24, 0x3d10
	s_addc_u32 s7, s7, s26
	s_add_u32 s2, s6, s2
	s_mul_i32 s33, s29, s4
	s_mul_hi_u32 s17, s28, s4
	s_addc_u32 s3, s7, s3
	s_mul_i32 s27, s46, s46
	s_mul_i32 s26, s5, s36
	s_add_i32 s33, s17, s33
	s_and_b32 s17, s2, 0x3ffffff
	s_lshl_b64 s[6:7], s[24:25], 10
	s_lshr_b64 s[2:3], s[2:3], 26
	s_add_u32 s24, s26, s27
	s_mul_hi_u32 s26, s46, s46
	s_mul_hi_u32 s27, s5, s36
	s_addc_u32 s26, s27, s26
	s_mul_i32 s4, s28, s4
	s_add_u32 s4, s24, s4
	s_addc_u32 s24, s26, s33
	s_add_u32 s0, s4, s0
	s_addc_u32 s1, s24, s1
	s_mul_i32 s27, s38, s38
	s_mul_i32 s26, s56, s30
	s_and_b32 s24, s0, 0x3ffffff
	s_lshr_b64 s[0:1], s[0:1], 26
	s_mul_hi_u32 s4, s38, s38
	s_mul_hi_u32 s33, s56, s30
	s_add_u32 s26, s26, s27
	s_mul_i32 s27, s21, s31
	s_addc_u32 s4, s33, s4
	s_mul_hi_u32 s33, s21, s31
	s_add_u32 s26, s26, s27
	s_addc_u32 s4, s4, s33
	s_mul_i32 s27, s29, s5
	s_mul_hi_u32 s33, s28, s5
	s_mul_i32 s58, s28, s5
	s_add_u32 s5, s26, s6
	s_addc_u32 s4, s4, s7
	s_mul_i32 s6, s24, 0x3d10
	s_mul_hi_u32 s7, s24, 0x3d10
	s_add_u32 s5, s5, s6
	s_addc_u32 s4, s4, s7
	s_add_u32 s2, s5, s2
	s_addc_u32 s3, s4, s3
	s_lshl_b32 s6, s46, 1
	s_add_i32 s33, s33, s27
	s_and_b32 s78, s2, 0x3ffffff
	s_lshl_b64 s[4:5], s[24:25], 10
	s_lshr_b64 s[2:3], s[2:3], 26
	s_mul_i32 s7, s6, s36
	s_add_u32 s7, s58, s7
	s_mul_hi_u32 s24, s6, s36
	s_addc_u32 s24, s33, s24
	s_add_u32 s0, s7, s0
	s_addc_u32 s1, s24, s1
	s_mul_i32 s7, s56, s31
	s_mul_i32 s26, s57, s30
	s_and_b32 s24, s0, 0x3ffffff
	s_lshr_b64 s[0:1], s[0:1], 26
	s_mul_hi_u32 s27, s56, s31
	s_add_u32 s7, s7, s26
	s_mul_hi_u32 s26, s57, s30
	s_addc_u32 s26, s27, s26
	s_mul_i32 s27, s21, s44
	s_add_u32 s7, s7, s27
	s_mul_hi_u32 s27, s21, s44
	s_addc_u32 s26, s26, s27
	s_add_u32 s4, s7, s4
	s_addc_u32 s5, s26, s5
	s_mul_i32 s26, s24, 0x3d10
	s_add_u32 s4, s4, s26
	s_mul_hi_u32 s26, s24, 0x3d10
	s_addc_u32 s5, s5, s26
	s_add_u32 s2, s4, s2
	s_mul_i32 s7, s29, s6
	s_addc_u32 s3, s5, s3
	s_mul_hi_u32 s4, s28, s6
	s_mul_i32 s27, s36, s36
	s_mul_i32 s6, s28, s6
	s_add_i32 s7, s4, s7
	s_and_b32 s58, s2, 0x3ffffff
	s_lshl_b64 s[4:5], s[24:25], 10
	s_lshr_b64 s[2:3], s[2:3], 26
	s_add_u32 s6, s6, s27
	s_mul_hi_u32 s24, s36, s36
	s_addc_u32 s7, s7, s24
	s_add_u32 s0, s6, s0
	s_addc_u32 s1, s7, s1
	s_mul_i32 s6, s30, s30
	s_mul_i32 s26, s57, s31
	s_and_b32 s24, s0, 0x3ffffff
	s_lshr_b64 s[0:1], s[0:1], 26
	s_mul_hi_u32 s7, s30, s30
	s_add_u32 s6, s26, s6
	s_mul_hi_u32 s26, s57, s31
	s_addc_u32 s7, s26, s7
	s_mul_i32 s26, s56, s44
	s_add_u32 s6, s6, s26
	s_mul_hi_u32 s26, s56, s44
	s_addc_u32 s7, s7, s26
	s_mul_i32 s26, s21, s45
	s_add_u32 s6, s6, s26
	s_mul_hi_u32 s26, s21, s45
	s_addc_u32 s7, s7, s26
	s_add_u32 s4, s6, s4
	s_mul_i32 s26, s24, 0x3d10
	s_addc_u32 s5, s7, s5
	s_mul_hi_u32 s6, s24, 0x3d10
	s_add_u32 s4, s4, s26
	s_addc_u32 s5, s5, s6
	s_add_u32 s2, s4, s2
	s_addc_u32 s3, s5, s3
	s_lshl_b32 s6, s36, 1
	s_mul_i32 s4, s29, s6
	s_mul_hi_u32 s5, s28, s6
	s_and_b32 s59, s2, 0x3ffffff
	s_add_i32 s7, s5, s4
	s_lshl_b64 s[4:5], s[24:25], 10
	s_lshr_b64 s[2:3], s[2:3], 26
	s_mul_i32 s6, s28, s6
	s_add_u32 s0, s0, s6
	s_addc_u32 s1, s1, s7
	s_mul_i32 s6, s57, s44
	s_mul_i32 s7, s60, s31
	s_and_b32 s24, s0, 0x3ffffff
	s_lshr_b64 s[0:1], s[0:1], 26
	s_add_u32 s6, s6, s7
	s_mul_hi_u32 s7, s57, s44
	s_mul_hi_u32 s26, s60, s31
	s_addc_u32 s7, s7, s26
	s_mul_i32 s26, s56, s45
	s_add_u32 s6, s6, s26
	s_mul_hi_u32 s26, s56, s45
	s_addc_u32 s7, s7, s26
	s_mul_i32 s26, s21, s46
	s_add_u32 s6, s6, s26
	s_mul_hi_u32 s26, s21, s46
	s_addc_u32 s7, s7, s26
	s_add_u32 s4, s6, s4
	s_addc_u32 s5, s7, s5
	s_mul_i32 s7, s24, 0x3d10
	s_add_u32 s4, s4, s7
	s_mul_hi_u32 s7, s24, 0x3d10
	s_addc_u32 s5, s5, s7
	s_mul_i32 s6, s28, s29
	s_add_u32 s2, s4, s2
	s_mul_hi_u32 s4, s28, s28
	s_addc_u32 s3, s5, s3
	s_add_i32 s4, s4, s6
	s_mul_i32 s26, s28, s28
	s_and_b32 s33, s2, 0x3ffffff
	s_add_i32 s27, s4, s6
	s_lshr_b64 s[4:5], s[2:3], 26
	s_lshl_b64 s[6:7], s[24:25], 10
	s_add_u32 s2, s0, s26
	s_addc_u32 s3, s1, s27
	s_mul_i32 s26, s31, s31
	s_and_b32 s24, s2, 0x3ffffff
	s_mul_i32 s27, s60, s44
	s_lshr_b64 s[0:1], s[2:3], 26
	s_add_u32 s26, s27, s26
	s_mul_hi_u32 s27, s60, s44
	s_mul_hi_u32 s60, s31, s31
	s_addc_u32 s27, s27, s60
	s_mul_i32 s60, s57, s45
	s_add_u32 s26, s26, s60
	s_mul_hi_u32 s57, s57, s45
	s_addc_u32 s27, s27, s57
	s_mul_i32 s57, s56, s46
	s_add_u32 s26, s26, s57
	;; [unrolled: 4-line block ×3, first 2 shown]
	s_mul_hi_u32 s21, s21, s36
	s_addc_u32 s21, s27, s21
	s_add_u32 s6, s56, s6
	s_addc_u32 s7, s21, s7
	v_mov_b32_e32 v0, s2
	s_mul_i32 s2, s24, 0x3d10
	s_add_u32 s2, s6, s2
	s_mul_hi_u32 s6, s24, 0x3d10
	v_alignbit_b32 v0, s3, v0, 26
	s_addc_u32 s6, s7, s6
	s_add_u32 s4, s2, s4
	v_readfirstlane_b32 s2, v0
	s_addc_u32 s5, s6, s5
	s_mul_hi_u32 s7, s2, 0x3d10
	s_mul_i32 s27, s2, 0x3d10
	s_lshr_b32 s2, s3, 26
	s_mulk_i32 s2, 0x3d10
	s_and_b32 s6, s4, 0x3ffffff
	s_add_i32 s7, s7, s2
	s_lshl_b64 s[2:3], s[24:25], 10
	s_lshr_b64 s[4:5], s[4:5], 26
	s_add_u32 s10, s27, s10
	s_addc_u32 s7, s7, 0
	s_add_u32 s2, s10, s2
	s_addc_u32 s3, s7, s3
	s_add_u32 s2, s2, s4
	s_addc_u32 s3, s3, s5
	s_lshl_b64 s[0:1], s[0:1], 14
	s_and_b32 s60, s2, 0x3fffff
	s_lshr_b64 s[2:3], s[2:3], 22
	s_add_u32 s0, s2, s0
	s_addc_u32 s1, s3, s1
	s_mul_hi_u32 s2, s0, 0x3d1
	s_mul_i32 s3, s1, 0x3d1
	s_add_i32 s3, s2, s3
	s_mul_i32 s2, s0, 0x3d1
	s_add_u32 s2, s2, s8
	s_addc_u32 s3, s3, 0
	s_lshl_b64 s[0:1], s[0:1], 6
	s_and_b32 s56, s2, 0x3ffffff
	s_lshr_b64 s[2:3], s[2:3], 26
	s_add_u32 s0, s0, s9
	s_addc_u32 s1, s1, 0
	s_add_u32 s0, s0, s2
	s_addc_u32 s1, s1, s3
	v_mov_b32_e32 v0, s0
	s_lshr_b32 s3, s62, 22
	v_alignbit_b32 v0, s1, v0, 26
	s_mul_i32 s1, s3, 0x3d1
	s_add_i32 s1, s50, s1
	s_lshl_b32 s3, s3, 6
	s_add_i32 s3, s53, s3
	s_lshr_b32 s9, s1, 26
	s_add_i32 s3, s3, s9
	s_lshr_b32 s9, s3, 26
	v_readfirstlane_b32 s61, v0
	s_add_i32 s9, s9, s54
	s_add_i32 s61, s61, s11
	s_lshr_b32 s11, s9, 26
	s_add_i32 s11, s11, s48
	s_lshr_b32 s48, s11, 26
	;; [unrolled: 2-line block ×5, first 2 shown]
	s_and_b32 s8, s62, 0x3fffff
	s_add_i32 s62, s47, s51
	s_lshr_b32 s47, s62, 26
	s_add_i32 s55, s47, s55
	s_lshr_b32 s54, s55, 26
	s_mul_i32 s27, s6, s23
	s_add_i32 s54, s54, s8
	s_mul_i32 s63, s60, s18
	s_and_b32 s79, s0, 0x3ffffff
	s_and_b32 s8, s1, 0x3ffffff
	;; [unrolled: 1-line block ×10, first 2 shown]
	s_mul_hi_u32 s2, s6, s23
	s_add_u32 s0, s27, s63
	s_mul_hi_u32 s1, s60, s18
	s_addc_u32 s1, s2, s1
	s_mul_i32 s2, s33, s22
	s_add_u32 s0, s0, s2
	s_mul_hi_u32 s2, s33, s22
	s_addc_u32 s1, s1, s2
	s_mul_i32 s2, s59, s19
	s_add_u32 s0, s0, s2
	s_mul_hi_u32 s2, s59, s19
	s_mul_i32 s4, s78, s16
	s_addc_u32 s1, s1, s2
	s_mul_hi_u32 s5, s78, s16
	s_add_u32 s0, s0, s4
	s_mul_i32 s3, s58, s15
	s_addc_u32 s1, s1, s5
	s_mul_hi_u32 s4, s58, s15
	s_add_u32 s0, s0, s3
	;; [unrolled: 4-line block ×4, first 2 shown]
	s_addc_u32 s1, s1, s11
	s_mul_i32 s11, s61, s13
	s_add_u32 s0, s0, s11
	s_mul_hi_u32 s11, s61, s13
	s_mul_i32 s5, s79, s12
	s_addc_u32 s1, s1, s11
	s_mul_hi_u32 s11, s79, s12
	s_add_u32 s0, s0, s5
	s_addc_u32 s1, s1, s11
	s_mul_i32 s3, s6, s22
	s_mul_i32 s5, s60, s23
	s_and_b32 s21, s0, 0x3ffffff
	s_lshr_b64 s[0:1], s[0:1], 26
	s_mul_hi_u32 s4, s6, s22
	s_add_u32 s3, s3, s5
	s_mul_hi_u32 s5, s60, s23
	s_addc_u32 s4, s4, s5
	s_mul_i32 s5, s33, s19
	s_add_u32 s3, s3, s5
	s_mul_hi_u32 s5, s33, s19
	s_addc_u32 s4, s4, s5
	s_mul_i32 s5, s58, s16
	;; [unrolled: 4-line block ×3, first 2 shown]
	s_add_u32 s3, s3, s5
	s_mul_hi_u32 s5, s59, s15
	s_mul_i32 s10, s78, s14
	s_addc_u32 s4, s4, s5
	s_mul_hi_u32 s2, s78, s14
	s_add_u32 s3, s3, s10
	s_mul_i32 s24, s17, s13
	s_addc_u32 s2, s4, s2
	s_mul_hi_u32 s7, s17, s13
	s_add_u32 s3, s3, s24
	s_addc_u32 s2, s2, s7
	s_mul_i32 s7, s79, s20
	s_add_u32 s3, s3, s7
	s_mul_hi_u32 s7, s79, s20
	s_addc_u32 s2, s2, s7
	s_mul_i32 s7, s61, s12
	s_add_u32 s3, s3, s7
	s_mul_hi_u32 s7, s61, s12
	s_addc_u32 s2, s2, s7
	s_add_u32 s0, s3, s0
	s_addc_u32 s1, s2, s1
	s_and_b32 s24, s0, 0x3ffffff
	s_mul_i32 s4, s56, s18
	s_lshr_b64 s[2:3], s[0:1], 26
	s_mul_i32 s0, s24, 0x3d10
	s_mul_hi_u32 s5, s56, s18
	s_mul_hi_u32 s1, s24, 0x3d10
	s_add_u32 s0, s0, s4
	s_addc_u32 s1, s1, s5
	s_mul_i32 s11, s6, s19
	s_mul_i32 s10, s60, s22
	s_and_b32 s7, s0, 0x3ffffff
	s_lshl_b64 s[4:5], s[24:25], 10
	s_lshr_b64 s[0:1], s[0:1], 26
	s_add_u32 s10, s11, s10
	s_mul_hi_u32 s11, s6, s19
	s_mul_hi_u32 s24, s60, s22
	s_addc_u32 s11, s11, s24
	s_mul_i32 s24, s59, s16
	s_add_u32 s10, s10, s24
	s_mul_hi_u32 s24, s59, s16
	s_addc_u32 s11, s11, s24
	s_mul_i32 s24, s33, s15
	s_add_u32 s10, s10, s24
	;; [unrolled: 4-line block ×6, first 2 shown]
	s_mul_hi_u32 s24, s17, s12
	s_addc_u32 s11, s11, s24
	s_add_u32 s2, s10, s2
	s_addc_u32 s3, s11, s3
	s_mul_i32 s10, s56, s23
	s_mul_i32 s11, s79, s18
	s_and_b32 s24, s2, 0x3ffffff
	s_lshr_b64 s[2:3], s[2:3], 26
	s_add_u32 s10, s10, s11
	s_mul_hi_u32 s11, s56, s23
	s_mul_hi_u32 s26, s79, s18
	s_addc_u32 s11, s11, s26
	s_add_u32 s4, s10, s4
	s_addc_u32 s5, s11, s5
	s_add_u32 s0, s4, s0
	s_addc_u32 s1, s5, s1
	s_mul_i32 s4, s24, 0x3d10
	s_mul_hi_u32 s5, s24, 0x3d10
	s_add_u32 s0, s0, s4
	s_addc_u32 s1, s1, s5
	s_mul_i32 s10, s33, s16
	s_mul_i32 s11, s60, s19
	s_and_b32 s57, s0, 0x3ffffff
	s_lshr_b64 s[0:1], s[0:1], 26
	s_lshl_b64 s[4:5], s[24:25], 10
	s_add_u32 s10, s10, s11
	s_mul_hi_u32 s11, s33, s16
	s_mul_hi_u32 s24, s60, s19
	s_addc_u32 s11, s11, s24
	s_mul_i32 s24, s6, s15
	s_add_u32 s10, s10, s24
	s_mul_hi_u32 s24, s6, s15
	s_addc_u32 s11, s11, s24
	s_mul_i32 s24, s59, s14
	s_add_u32 s10, s10, s24
	;; [unrolled: 4-line block ×5, first 2 shown]
	s_mul_hi_u32 s24, s78, s12
	s_addc_u32 s11, s11, s24
	s_add_u32 s2, s10, s2
	s_addc_u32 s3, s11, s3
	s_mul_i32 s10, s79, s23
	s_and_b32 s24, s2, 0x3ffffff
	s_lshr_b64 s[2:3], s[2:3], 26
	s_mul_i32 s11, s61, s18
	s_add_u32 s10, s10, s11
	s_mul_hi_u32 s11, s79, s23
	s_mul_hi_u32 s26, s61, s18
	s_addc_u32 s11, s11, s26
	s_mul_i32 s26, s56, s22
	s_add_u32 s10, s10, s26
	s_mul_hi_u32 s26, s56, s22
	s_addc_u32 s11, s11, s26
	s_add_u32 s4, s10, s4
	s_addc_u32 s5, s11, s5
	s_mul_i32 s10, s24, 0x3d10
	s_add_u32 s4, s4, s10
	s_mul_hi_u32 s10, s24, 0x3d10
	s_addc_u32 s5, s5, s10
	s_add_u32 s0, s4, s0
	s_addc_u32 s1, s5, s1
	s_mul_i32 s10, s6, s16
	s_mul_i32 s11, s60, s15
	s_and_b32 s80, s0, 0x3ffffff
	s_lshr_b64 s[0:1], s[0:1], 26
	s_lshl_b64 s[4:5], s[24:25], 10
	s_add_u32 s10, s11, s10
	s_mul_hi_u32 s11, s6, s16
	s_mul_hi_u32 s24, s60, s15
	s_addc_u32 s11, s24, s11
	s_mul_i32 s24, s33, s14
	s_add_u32 s10, s10, s24
	s_mul_hi_u32 s24, s33, s14
	s_addc_u32 s11, s11, s24
	s_mul_i32 s24, s78, s20
	s_add_u32 s10, s10, s24
	;; [unrolled: 4-line block ×4, first 2 shown]
	s_mul_hi_u32 s24, s58, s12
	s_addc_u32 s11, s11, s24
	s_add_u32 s2, s10, s2
	s_addc_u32 s3, s11, s3
	s_and_b32 s24, s2, 0x3ffffff
	s_lshr_b64 s[2:3], s[2:3], 26
	s_mul_i32 s10, s17, s18
	s_mul_i32 s11, s61, s23
	s_add_u32 s10, s11, s10
	s_mul_hi_u32 s11, s17, s18
	s_mul_hi_u32 s26, s61, s23
	s_addc_u32 s11, s26, s11
	s_mul_i32 s26, s79, s22
	s_add_u32 s10, s10, s26
	s_mul_hi_u32 s26, s79, s22
	s_addc_u32 s11, s11, s26
	s_mul_i32 s26, s56, s19
	s_add_u32 s10, s10, s26
	s_mul_hi_u32 s26, s56, s19
	s_addc_u32 s11, s11, s26
	s_add_u32 s4, s10, s4
	s_addc_u32 s5, s11, s5
	s_mul_i32 s10, s24, 0x3d10
	s_add_u32 s4, s4, s10
	s_mul_hi_u32 s10, s24, 0x3d10
	s_addc_u32 s5, s5, s10
	s_add_u32 s0, s4, s0
	s_addc_u32 s1, s5, s1
	s_mul_i32 s11, s6, s14
	s_and_b32 s10, s0, 0x3ffffff
	s_lshr_b64 s[0:1], s[0:1], 26
	s_mul_i32 s26, s60, s16
	s_lshl_b64 s[4:5], s[24:25], 10
	s_add_u32 s11, s11, s26
	s_mul_hi_u32 s24, s6, s14
	s_mul_hi_u32 s26, s60, s16
	s_addc_u32 s24, s24, s26
	s_mul_i32 s26, s58, s20
	s_add_u32 s11, s11, s26
	s_mul_hi_u32 s26, s58, s20
	s_addc_u32 s24, s24, s26
	s_mul_i32 s26, s33, s13
	s_add_u32 s11, s11, s26
	;; [unrolled: 4-line block ×3, first 2 shown]
	s_mul_hi_u32 s26, s59, s12
	s_addc_u32 s24, s24, s26
	s_add_u32 s2, s11, s2
	s_addc_u32 s3, s24, s3
	s_and_b32 s24, s2, 0x3ffffff
	s_lshr_b64 s[2:3], s[2:3], 26
	s_mul_i32 s11, s17, s23
	s_mul_i32 s26, s78, s18
	s_add_u32 s11, s11, s26
	s_mul_hi_u32 s26, s17, s23
	s_mul_hi_u32 s27, s78, s18
	s_addc_u32 s26, s26, s27
	s_mul_i32 s27, s61, s22
	s_add_u32 s11, s11, s27
	s_mul_hi_u32 s27, s61, s22
	s_addc_u32 s26, s26, s27
	s_mul_i32 s27, s79, s19
	s_add_u32 s11, s11, s27
	;; [unrolled: 4-line block ×3, first 2 shown]
	s_mul_hi_u32 s27, s56, s15
	s_addc_u32 s26, s26, s27
	s_add_u32 s4, s11, s4
	s_addc_u32 s5, s26, s5
	s_mul_i32 s11, s24, 0x3d10
	s_add_u32 s4, s4, s11
	s_mul_hi_u32 s11, s24, 0x3d10
	s_addc_u32 s5, s5, s11
	s_add_u32 s0, s4, s0
	s_addc_u32 s1, s5, s1
	s_and_b32 s11, s0, 0x3ffffff
	s_lshr_b64 s[0:1], s[0:1], 26
	s_mul_i32 s26, s59, s20
	s_mul_i32 s27, s60, s14
	s_lshl_b64 s[4:5], s[24:25], 10
	s_add_u32 s24, s26, s27
	s_mul_hi_u32 s26, s59, s20
	s_mul_hi_u32 s27, s60, s14
	s_addc_u32 s26, s26, s27
	s_mul_i32 s27, s6, s13
	s_add_u32 s24, s24, s27
	s_mul_hi_u32 s27, s6, s13
	s_addc_u32 s26, s26, s27
	s_mul_i32 s27, s33, s12
	s_add_u32 s24, s24, s27
	s_mul_hi_u32 s27, s33, s12
	s_addc_u32 s26, s26, s27
	s_add_u32 s2, s24, s2
	s_addc_u32 s3, s26, s3
	s_and_b32 s24, s2, 0x3ffffff
	s_lshr_b64 s[2:3], s[2:3], 26
	s_mul_i32 s26, s78, s23
	s_mul_i32 s27, s58, s18
	s_add_u32 s26, s26, s27
	s_mul_hi_u32 s27, s78, s23
	s_mul_hi_u32 s55, s58, s18
	s_addc_u32 s27, s27, s55
	s_mul_i32 s55, s17, s22
	s_add_u32 s26, s26, s55
	s_mul_hi_u32 s55, s17, s22
	s_addc_u32 s27, s27, s55
	s_mul_i32 s55, s61, s19
	s_add_u32 s26, s26, s55
	;; [unrolled: 4-line block ×4, first 2 shown]
	s_mul_hi_u32 s55, s79, s15
	s_addc_u32 s27, s27, s55
	s_add_u32 s4, s26, s4
	s_addc_u32 s5, s27, s5
	s_mul_i32 s26, s24, 0x3d10
	s_add_u32 s4, s4, s26
	s_mul_hi_u32 s26, s24, 0x3d10
	s_addc_u32 s5, s5, s26
	s_add_u32 s0, s4, s0
	s_addc_u32 s1, s5, s1
	s_and_b32 s55, s0, 0x3ffffff
	s_lshr_b64 s[0:1], s[0:1], 26
	s_mul_i32 s26, s33, s20
	s_mul_i32 s27, s60, s13
	s_lshl_b64 s[4:5], s[24:25], 10
	s_add_u32 s24, s27, s26
	s_mul_hi_u32 s26, s33, s20
	s_mul_hi_u32 s27, s60, s13
	s_addc_u32 s26, s27, s26
	s_mul_i32 s27, s6, s12
	s_add_u32 s24, s24, s27
	s_mul_hi_u32 s27, s6, s12
	s_addc_u32 s26, s26, s27
	s_add_u32 s2, s24, s2
	s_addc_u32 s3, s26, s3
	s_and_b32 s24, s2, 0x3ffffff
	s_lshr_b64 s[2:3], s[2:3], 26
	s_mul_i32 s26, s58, s23
	s_mul_i32 s27, s59, s18
	s_add_u32 s26, s26, s27
	s_mul_hi_u32 s27, s58, s23
	s_mul_hi_u32 s62, s59, s18
	s_addc_u32 s27, s27, s62
	s_mul_i32 s62, s78, s22
	s_add_u32 s26, s26, s62
	s_mul_hi_u32 s62, s78, s22
	s_addc_u32 s27, s27, s62
	s_mul_i32 s62, s17, s19
	s_add_u32 s26, s26, s62
	;; [unrolled: 4-line block ×5, first 2 shown]
	s_mul_hi_u32 s62, s56, s14
	s_addc_u32 s27, s27, s62
	s_add_u32 s4, s26, s4
	s_addc_u32 s5, s27, s5
	s_mul_i32 s26, s24, 0x3d10
	s_add_u32 s4, s4, s26
	s_mul_hi_u32 s26, s24, 0x3d10
	s_addc_u32 s5, s5, s26
	s_add_u32 s0, s4, s0
	s_addc_u32 s1, s5, s1
	s_and_b32 s62, s0, 0x3ffffff
	s_lshr_b64 s[0:1], s[0:1], 26
	s_mul_i32 s26, s6, s20
	s_mul_i32 s27, s60, s12
	s_lshl_b64 s[4:5], s[24:25], 10
	s_add_u32 s24, s27, s26
	s_mul_hi_u32 s26, s6, s20
	s_mul_hi_u32 s27, s60, s12
	s_addc_u32 s26, s27, s26
	s_add_u32 s2, s24, s2
	s_addc_u32 s3, s26, s3
	s_and_b32 s24, s2, 0x3ffffff
	s_lshr_b64 s[82:83], s[2:3], 26
	s_mul_i32 s2, s59, s23
	s_mul_i32 s3, s33, s18
	s_add_u32 s2, s2, s3
	s_mul_hi_u32 s3, s59, s23
	s_mul_hi_u32 s26, s33, s18
	s_addc_u32 s3, s3, s26
	s_mul_i32 s26, s58, s22
	s_add_u32 s2, s2, s26
	s_mul_hi_u32 s26, s58, s22
	s_addc_u32 s3, s3, s26
	s_mul_i32 s26, s78, s19
	s_add_u32 s2, s2, s26
	s_mul_hi_u32 s26, s78, s19
	s_addc_u32 s3, s3, s26
	s_mul_i32 s26, s61, s16
	s_add_u32 s2, s2, s26
	s_mul_hi_u32 s26, s61, s16
	s_addc_u32 s3, s3, s26
	s_mul_i32 s26, s17, s15
	s_add_u32 s2, s2, s26
	s_mul_hi_u32 s26, s17, s15
	s_addc_u32 s3, s3, s26
	s_mul_i32 s26, s79, s14
	s_add_u32 s2, s2, s26
	s_mul_hi_u32 s26, s79, s14
	s_addc_u32 s3, s3, s26
	s_mul_i32 s26, s56, s13
	s_add_u32 s2, s2, s26
	s_mul_hi_u32 s26, s56, s13
	s_addc_u32 s3, s3, s26
	s_add_u32 s2, s2, s4
	s_addc_u32 s3, s3, s5
	s_mul_i32 s4, s24, 0x3d10
	s_add_u32 s2, s2, s4
	s_mul_hi_u32 s4, s24, 0x3d10
	s_addc_u32 s3, s3, s4
	s_add_u32 s0, s2, s0
	s_addc_u32 s1, s3, s1
	s_mul_i32 s4, s60, s20
	s_and_b32 s63, s0, 0x3ffffff
	s_lshr_b64 s[0:1], s[0:1], 26
	s_lshl_b64 s[2:3], s[24:25], 10
	s_mul_hi_u32 s5, s60, s20
	s_add_u32 s4, s82, s4
	s_addc_u32 s5, s83, s5
	v_mov_b32_e32 v0, s4
	s_and_b32 s24, s4, 0x3ffffff
	v_alignbit_b32 v0, s5, v0, 26
	s_lshr_b64 s[4:5], s[4:5], 26
	s_mul_i32 s20, s33, s23
	s_mul_i32 s26, s6, s18
	s_add_u32 s20, s20, s26
	s_mul_hi_u32 s23, s33, s23
	s_mul_hi_u32 s18, s6, s18
	s_addc_u32 s18, s23, s18
	s_mul_i32 s23, s59, s22
	s_add_u32 s20, s20, s23
	s_mul_hi_u32 s22, s59, s22
	s_addc_u32 s18, s18, s22
	s_mul_i32 s22, s58, s19
	s_add_u32 s20, s20, s22
	;; [unrolled: 4-line block ×7, first 2 shown]
	s_mul_hi_u32 s12, s56, s12
	s_addc_u32 s12, s13, s12
	s_add_u32 s2, s14, s2
	s_mul_i32 s13, s24, 0x3d10
	s_addc_u32 s3, s12, s3
	s_mul_hi_u32 s12, s24, 0x3d10
	s_add_u32 s2, s2, s13
	s_addc_u32 s3, s3, s12
	s_add_u32 s0, s2, s0
	v_readfirstlane_b32 s14, v0
	s_addc_u32 s1, s3, s1
	s_mul_i32 s13, s14, 0x3d10
	s_and_b32 s16, s0, 0x3ffffff
	s_lshl_b64 s[2:3], s[24:25], 10
	s_lshr_b64 s[0:1], s[0:1], 26
	s_add_u32 s12, s13, s21
	s_mul_hi_u32 s13, s14, 0x3d10
	s_addc_u32 s13, s13, 0
	s_add_u32 s2, s12, s2
	s_addc_u32 s3, s13, s3
	s_add_u32 s0, s2, s0
	s_addc_u32 s1, s3, s1
	s_lshl_b64 s[2:3], s[4:5], 14
	s_and_b32 s18, s0, 0x3fffff
	s_lshr_b64 s[0:1], s[0:1], 22
	s_add_u32 s0, s0, s2
	s_addc_u32 s1, s1, s3
	s_mul_hi_u32 s2, s0, 0x3d1
	s_mul_i32 s3, s1, 0x3d1
	s_add_i32 s3, s2, s3
	s_mul_i32 s2, s0, 0x3d1
	s_add_u32 s2, s2, s7
	s_addc_u32 s3, s3, 0
	s_lshl_b64 s[0:1], s[0:1], 6
	s_and_b32 s19, s2, 0x3ffffff
	s_lshr_b64 s[2:3], s[2:3], 26
	s_add_u32 s0, s0, s57
	s_addc_u32 s1, s1, 0
	s_add_u32 s0, s0, s2
	s_addc_u32 s1, s1, s3
	v_mov_b32_e32 v0, s0
	s_lshr_b32 s3, s71, 22
	v_alignbit_b32 v0, s1, v0, 26
	s_mul_i32 s1, s3, 0x3d1
	s_add_i32 s1, s34, s1
	s_lshl_b32 s3, s3, 6
	s_add_i32 s3, s43, s3
	s_lshr_b32 s13, s1, 26
	s_add_i32 s3, s3, s13
	s_lshr_b32 s13, s3, 26
	;; [unrolled: 2-line block ×8, first 2 shown]
	s_add_i32 s69, s14, s70
	s_and_b32 s12, s71, 0x3fffff
	v_readfirstlane_b32 s71, v0
	s_lshr_b32 s43, s69, 26
	s_mul_i32 s24, s6, s73
	s_add_i32 s71, s71, s80
	s_add_i32 s43, s43, s12
	s_mul_i32 s70, s60, s64
	s_and_b32 s57, s0, 0x3ffffff
	s_and_b32 s37, s1, 0x3ffffff
	s_and_b32 s87, s3, 0x3ffffff
	s_and_b32 s34, s13, 0x3ffffff
	s_and_b32 s14, s15, 0x3ffffff
	s_and_b32 s13, s26, 0x3ffffff
	s_and_b32 s12, s27, 0x3ffffff
	s_and_b32 s41, s35, 0x3ffffff
	s_and_b32 s15, s68, 0x3ffffff
	s_and_b32 s35, s69, 0x3ffffff
	s_mul_hi_u32 s2, s6, s73
	s_add_u32 s0, s24, s70
	s_mul_hi_u32 s1, s60, s64
	s_addc_u32 s1, s2, s1
	s_mul_i32 s2, s33, s75
	s_add_u32 s0, s0, s2
	s_mul_hi_u32 s2, s33, s75
	s_addc_u32 s1, s1, s2
	s_mul_i32 s2, s59, s76
	s_add_u32 s0, s0, s2
	s_mul_hi_u32 s2, s59, s76
	s_mul_i32 s4, s78, s65
	s_addc_u32 s1, s1, s2
	s_mul_hi_u32 s5, s78, s65
	s_add_u32 s0, s0, s4
	s_mul_i32 s3, s58, s77
	s_addc_u32 s1, s1, s5
	s_mul_hi_u32 s4, s58, s77
	s_add_u32 s0, s0, s3
	;; [unrolled: 4-line block ×3, first 2 shown]
	s_addc_u32 s1, s1, s22
	s_mul_i32 s20, s61, s72
	s_add_u32 s0, s0, s20
	s_mul_hi_u32 s20, s61, s72
	s_mul_i32 s5, s56, s66
	s_addc_u32 s1, s1, s20
	s_mul_hi_u32 s20, s56, s66
	s_add_u32 s0, s0, s5
	s_mul_i32 s5, s79, s74
	s_addc_u32 s1, s1, s20
	s_mul_hi_u32 s20, s79, s74
	s_add_u32 s0, s0, s5
	s_addc_u32 s1, s1, s20
	s_mul_i32 s3, s6, s75
	s_mul_i32 s5, s60, s73
	s_and_b32 s68, s0, 0x3ffffff
	s_lshr_b64 s[0:1], s[0:1], 26
	s_mul_hi_u32 s4, s6, s75
	s_add_u32 s3, s3, s5
	s_mul_hi_u32 s5, s60, s73
	s_addc_u32 s4, s4, s5
	s_mul_i32 s5, s33, s76
	s_add_u32 s3, s3, s5
	s_mul_hi_u32 s5, s33, s76
	s_addc_u32 s4, s4, s5
	s_mul_i32 s5, s58, s65
	;; [unrolled: 4-line block ×3, first 2 shown]
	s_add_u32 s3, s3, s5
	s_mul_hi_u32 s5, s59, s77
	s_mul_i32 s7, s78, s67
	s_addc_u32 s4, s4, s5
	s_mul_hi_u32 s2, s78, s67
	s_add_u32 s3, s3, s7
	s_mul_i32 s21, s17, s72
	s_addc_u32 s2, s4, s2
	s_mul_hi_u32 s23, s17, s72
	s_add_u32 s3, s3, s21
	s_addc_u32 s2, s2, s23
	s_mul_i32 s21, s79, s66
	s_add_u32 s3, s3, s21
	s_mul_hi_u32 s21, s79, s66
	s_addc_u32 s2, s2, s21
	s_mul_i32 s21, s61, s74
	s_add_u32 s3, s3, s21
	s_mul_hi_u32 s21, s61, s74
	s_addc_u32 s2, s2, s21
	s_add_u32 s0, s3, s0
	s_addc_u32 s1, s2, s1
	s_and_b32 s24, s0, 0x3ffffff
	s_mul_i32 s4, s56, s64
	s_lshr_b64 s[0:1], s[0:1], 26
	s_mul_i32 s2, s24, 0x3d10
	s_mul_hi_u32 s5, s56, s64
	s_mul_hi_u32 s3, s24, 0x3d10
	s_add_u32 s2, s2, s4
	s_addc_u32 s3, s3, s5
	s_mul_i32 s20, s6, s76
	s_mul_i32 s7, s60, s75
	s_and_b32 s69, s2, 0x3ffffff
	s_lshl_b64 s[4:5], s[24:25], 10
	s_lshr_b64 s[2:3], s[2:3], 26
	s_add_u32 s7, s20, s7
	s_mul_hi_u32 s20, s6, s76
	s_mul_hi_u32 s21, s60, s75
	s_addc_u32 s20, s20, s21
	s_mul_i32 s21, s59, s65
	s_add_u32 s7, s7, s21
	s_mul_hi_u32 s21, s59, s65
	s_addc_u32 s20, s20, s21
	s_mul_i32 s21, s33, s77
	s_add_u32 s7, s7, s21
	;; [unrolled: 4-line block ×6, first 2 shown]
	s_mul_hi_u32 s21, s17, s74
	s_addc_u32 s20, s20, s21
	s_add_u32 s0, s7, s0
	s_addc_u32 s1, s20, s1
	s_mul_i32 s7, s56, s73
	s_mul_i32 s20, s79, s64
	s_and_b32 s24, s0, 0x3ffffff
	s_lshr_b64 s[0:1], s[0:1], 26
	s_add_u32 s7, s7, s20
	s_mul_hi_u32 s20, s56, s73
	s_mul_hi_u32 s21, s79, s64
	s_addc_u32 s20, s20, s21
	s_add_u32 s4, s7, s4
	s_addc_u32 s5, s20, s5
	s_add_u32 s2, s4, s2
	s_addc_u32 s3, s5, s3
	s_mul_i32 s4, s24, 0x3d10
	s_mul_hi_u32 s5, s24, 0x3d10
	s_add_u32 s2, s2, s4
	s_addc_u32 s3, s3, s5
	s_mul_i32 s7, s33, s65
	s_mul_i32 s20, s60, s76
	s_and_b32 s70, s2, 0x3ffffff
	s_lshr_b64 s[2:3], s[2:3], 26
	s_lshl_b64 s[4:5], s[24:25], 10
	s_add_u32 s7, s7, s20
	s_mul_hi_u32 s20, s33, s65
	s_mul_hi_u32 s21, s60, s76
	s_addc_u32 s20, s20, s21
	s_mul_i32 s21, s6, s77
	s_add_u32 s7, s7, s21
	s_mul_hi_u32 s21, s6, s77
	s_addc_u32 s20, s20, s21
	s_mul_i32 s21, s59, s67
	s_add_u32 s7, s7, s21
	;; [unrolled: 4-line block ×5, first 2 shown]
	s_mul_hi_u32 s21, s78, s74
	s_addc_u32 s20, s20, s21
	s_add_u32 s0, s7, s0
	s_addc_u32 s1, s20, s1
	s_mul_i32 s7, s79, s73
	s_and_b32 s24, s0, 0x3ffffff
	s_lshr_b64 s[0:1], s[0:1], 26
	s_mul_i32 s20, s61, s64
	s_add_u32 s7, s7, s20
	s_mul_hi_u32 s20, s79, s73
	s_mul_hi_u32 s21, s61, s64
	s_addc_u32 s20, s20, s21
	s_mul_i32 s21, s56, s75
	s_add_u32 s7, s7, s21
	s_mul_hi_u32 s21, s56, s75
	s_addc_u32 s20, s20, s21
	s_add_u32 s4, s7, s4
	s_addc_u32 s5, s20, s5
	s_mul_i32 s7, s24, 0x3d10
	s_add_u32 s4, s4, s7
	s_mul_hi_u32 s7, s24, 0x3d10
	s_addc_u32 s5, s5, s7
	s_add_u32 s2, s4, s2
	s_addc_u32 s3, s5, s3
	s_mul_i32 s7, s6, s65
	s_mul_i32 s20, s60, s77
	s_and_b32 s80, s2, 0x3ffffff
	s_lshr_b64 s[2:3], s[2:3], 26
	s_lshl_b64 s[4:5], s[24:25], 10
	s_add_u32 s7, s20, s7
	s_mul_hi_u32 s20, s6, s65
	s_mul_hi_u32 s21, s60, s77
	s_addc_u32 s20, s21, s20
	s_mul_i32 s21, s33, s67
	s_add_u32 s7, s7, s21
	s_mul_hi_u32 s21, s33, s67
	s_addc_u32 s20, s20, s21
	s_mul_i32 s21, s59, s72
	s_add_u32 s7, s7, s21
	;; [unrolled: 4-line block ×4, first 2 shown]
	s_mul_hi_u32 s21, s58, s74
	s_addc_u32 s20, s20, s21
	s_add_u32 s0, s7, s0
	s_addc_u32 s1, s20, s1
	s_and_b32 s24, s0, 0x3ffffff
	s_lshr_b64 s[0:1], s[0:1], 26
	s_mul_i32 s7, s17, s64
	s_mul_i32 s20, s61, s73
	s_add_u32 s7, s20, s7
	s_mul_hi_u32 s20, s17, s64
	s_mul_hi_u32 s21, s61, s73
	s_addc_u32 s20, s21, s20
	s_mul_i32 s21, s79, s75
	s_add_u32 s7, s7, s21
	s_mul_hi_u32 s21, s79, s75
	s_addc_u32 s20, s20, s21
	s_mul_i32 s21, s56, s76
	s_add_u32 s7, s7, s21
	s_mul_hi_u32 s21, s56, s76
	s_addc_u32 s20, s20, s21
	s_add_u32 s4, s7, s4
	s_addc_u32 s5, s20, s5
	s_mul_i32 s7, s24, 0x3d10
	s_add_u32 s4, s4, s7
	s_mul_hi_u32 s7, s24, 0x3d10
	s_addc_u32 s5, s5, s7
	s_add_u32 s2, s4, s2
	s_addc_u32 s3, s5, s3
	s_mul_i32 s20, s6, s67
	s_and_b32 s7, s2, 0x3ffffff
	s_lshr_b64 s[2:3], s[2:3], 26
	s_mul_i32 s21, s60, s65
	s_lshl_b64 s[4:5], s[24:25], 10
	s_add_u32 s20, s20, s21
	s_mul_hi_u32 s21, s6, s67
	s_mul_hi_u32 s22, s60, s65
	s_addc_u32 s21, s21, s22
	s_mul_i32 s22, s33, s72
	s_add_u32 s20, s20, s22
	s_mul_hi_u32 s22, s33, s72
	s_addc_u32 s21, s21, s22
	s_mul_i32 s22, s58, s66
	s_add_u32 s20, s20, s22
	;; [unrolled: 4-line block ×3, first 2 shown]
	s_mul_hi_u32 s22, s59, s74
	s_addc_u32 s21, s21, s22
	s_add_u32 s0, s20, s0
	s_addc_u32 s1, s21, s1
	s_and_b32 s24, s0, 0x3ffffff
	s_lshr_b64 s[0:1], s[0:1], 26
	s_mul_i32 s20, s17, s73
	s_mul_i32 s21, s78, s64
	s_add_u32 s20, s20, s21
	s_mul_hi_u32 s21, s17, s73
	s_mul_hi_u32 s22, s78, s64
	s_addc_u32 s21, s21, s22
	s_mul_i32 s22, s61, s75
	s_add_u32 s20, s20, s22
	s_mul_hi_u32 s22, s61, s75
	s_addc_u32 s21, s21, s22
	s_mul_i32 s22, s79, s76
	s_add_u32 s20, s20, s22
	;; [unrolled: 4-line block ×3, first 2 shown]
	s_mul_hi_u32 s22, s56, s77
	s_addc_u32 s21, s21, s22
	s_add_u32 s4, s20, s4
	s_addc_u32 s5, s21, s5
	s_mul_i32 s20, s24, 0x3d10
	s_add_u32 s4, s4, s20
	s_mul_hi_u32 s20, s24, 0x3d10
	s_addc_u32 s5, s5, s20
	s_add_u32 s2, s4, s2
	s_addc_u32 s3, s5, s3
	s_and_b32 s22, s2, 0x3ffffff
	s_lshr_b64 s[2:3], s[2:3], 26
	s_mul_i32 s20, s6, s72
	s_mul_i32 s21, s60, s67
	s_lshl_b64 s[4:5], s[24:25], 10
	s_add_u32 s20, s20, s21
	s_mul_hi_u32 s21, s6, s72
	s_mul_hi_u32 s23, s60, s67
	s_addc_u32 s21, s21, s23
	s_mul_i32 s23, s59, s66
	s_add_u32 s20, s20, s23
	s_mul_hi_u32 s23, s59, s66
	s_addc_u32 s21, s21, s23
	s_mul_i32 s23, s33, s74
	s_add_u32 s20, s20, s23
	s_mul_hi_u32 s23, s33, s74
	s_addc_u32 s21, s21, s23
	s_add_u32 s0, s20, s0
	s_addc_u32 s1, s21, s1
	s_and_b32 s24, s0, 0x3ffffff
	s_lshr_b64 s[0:1], s[0:1], 26
	s_mul_i32 s20, s78, s73
	s_mul_i32 s21, s58, s64
	s_add_u32 s20, s20, s21
	s_mul_hi_u32 s21, s78, s73
	s_mul_hi_u32 s23, s58, s64
	s_addc_u32 s21, s21, s23
	s_mul_i32 s23, s17, s75
	s_add_u32 s20, s20, s23
	s_mul_hi_u32 s23, s17, s75
	s_addc_u32 s21, s21, s23
	s_mul_i32 s23, s61, s76
	s_add_u32 s20, s20, s23
	;; [unrolled: 4-line block ×4, first 2 shown]
	s_mul_hi_u32 s23, s79, s77
	s_addc_u32 s21, s21, s23
	s_add_u32 s4, s20, s4
	s_addc_u32 s5, s21, s5
	s_mul_i32 s20, s24, 0x3d10
	s_add_u32 s4, s4, s20
	s_mul_hi_u32 s20, s24, 0x3d10
	s_addc_u32 s5, s5, s20
	s_add_u32 s2, s4, s2
	s_addc_u32 s3, s5, s3
	s_and_b32 s23, s2, 0x3ffffff
	s_lshr_b64 s[2:3], s[2:3], 26
	s_mul_i32 s20, s33, s66
	s_mul_i32 s21, s60, s72
	s_lshl_b64 s[4:5], s[24:25], 10
	s_add_u32 s20, s20, s21
	s_mul_hi_u32 s21, s33, s66
	s_mul_hi_u32 s24, s60, s72
	s_addc_u32 s21, s21, s24
	s_mul_i32 s24, s6, s74
	s_add_u32 s20, s20, s24
	s_mul_hi_u32 s24, s6, s74
	s_addc_u32 s21, s21, s24
	s_add_u32 s0, s20, s0
	s_addc_u32 s1, s21, s1
	s_and_b32 s24, s0, 0x3ffffff
	s_lshr_b64 s[0:1], s[0:1], 26
	s_mul_i32 s20, s58, s73
	s_mul_i32 s21, s59, s64
	s_add_u32 s20, s20, s21
	s_mul_hi_u32 s21, s58, s73
	s_mul_hi_u32 s26, s59, s64
	s_addc_u32 s21, s21, s26
	s_mul_i32 s26, s78, s75
	s_add_u32 s20, s20, s26
	s_mul_hi_u32 s26, s78, s75
	s_addc_u32 s21, s21, s26
	s_mul_i32 s26, s17, s76
	s_add_u32 s20, s20, s26
	;; [unrolled: 4-line block ×5, first 2 shown]
	s_mul_hi_u32 s26, s56, s67
	s_addc_u32 s21, s21, s26
	s_add_u32 s4, s20, s4
	s_addc_u32 s5, s21, s5
	s_mul_i32 s20, s24, 0x3d10
	s_add_u32 s4, s4, s20
	s_mul_hi_u32 s20, s24, 0x3d10
	s_addc_u32 s5, s5, s20
	s_add_u32 s2, s4, s2
	s_addc_u32 s3, s5, s3
	s_and_b32 s20, s2, 0x3ffffff
	s_lshr_b64 s[2:3], s[2:3], 26
	s_mul_i32 s21, s6, s66
	s_mul_i32 s26, s60, s74
	s_lshl_b64 s[4:5], s[24:25], 10
	s_add_u32 s21, s26, s21
	s_mul_hi_u32 s24, s6, s66
	s_mul_hi_u32 s26, s60, s74
	s_addc_u32 s24, s26, s24
	s_add_u32 s0, s21, s0
	s_addc_u32 s1, s24, s1
	s_and_b32 s24, s0, 0x3ffffff
	s_lshr_b64 s[82:83], s[0:1], 26
	s_mul_i32 s0, s59, s73
	s_mul_i32 s1, s33, s64
	s_add_u32 s0, s0, s1
	s_mul_hi_u32 s1, s59, s73
	s_mul_hi_u32 s21, s33, s64
	s_addc_u32 s1, s1, s21
	s_mul_i32 s21, s58, s75
	s_add_u32 s0, s0, s21
	s_mul_hi_u32 s21, s58, s75
	s_addc_u32 s1, s1, s21
	s_mul_i32 s21, s78, s76
	s_add_u32 s0, s0, s21
	;; [unrolled: 4-line block ×6, first 2 shown]
	s_mul_hi_u32 s21, s56, s72
	s_addc_u32 s1, s1, s21
	s_add_u32 s0, s0, s4
	s_addc_u32 s1, s1, s5
	s_mul_i32 s4, s24, 0x3d10
	s_add_u32 s0, s0, s4
	s_mul_hi_u32 s4, s24, 0x3d10
	s_addc_u32 s1, s1, s4
	s_add_u32 s0, s0, s2
	s_addc_u32 s1, s1, s3
	s_mul_hi_u32 s5, s60, s66
	s_mul_i32 s60, s60, s66
	s_and_b32 s21, s0, 0x3ffffff
	s_lshr_b64 s[0:1], s[0:1], 26
	s_lshl_b64 s[2:3], s[24:25], 10
	s_add_u32 s4, s82, s60
	s_addc_u32 s5, s83, s5
	v_mov_b32_e32 v0, s4
	s_mul_hi_u32 s60, s33, s73
	s_mul_i32 s33, s33, s73
	s_mul_hi_u32 s73, s6, s64
	s_mul_i32 s64, s6, s64
	s_and_b32 s24, s4, 0x3ffffff
	v_alignbit_b32 v0, s5, v0, 26
	s_lshr_b64 s[4:5], s[4:5], 26
	s_add_u32 s33, s33, s64
	s_mul_i32 s27, s59, s75
	s_addc_u32 s60, s60, s73
	s_mul_hi_u32 s66, s58, s76
	s_mul_i32 s76, s58, s76
	s_mul_hi_u32 s26, s59, s75
	s_mul_hi_u32 s58, s61, s67
	s_mul_i32 s59, s61, s67
	s_add_u32 s61, s33, s27
	s_addc_u32 s33, s60, s26
	s_add_u32 s26, s61, s76
	s_mul_hi_u32 s82, s17, s65
	s_mul_i32 s65, s17, s65
	s_addc_u32 s27, s33, s66
	s_add_u32 s26, s26, s65
	s_mul_hi_u32 s81, s78, s77
	s_mul_i32 s78, s78, s77
	s_addc_u32 s27, s27, s82
	s_add_u32 s64, s26, s78
	s_addc_u32 s73, s27, s81
	s_add_u32 s26, s64, s59
	s_mul_hi_u32 s17, s79, s72
	s_mul_i32 s79, s79, s72
	s_addc_u32 s27, s73, s58
	s_add_u32 s26, s26, s79
	s_mul_hi_u32 s6, s56, s74
	s_mul_i32 s56, s56, s74
	s_addc_u32 s17, s27, s17
	s_add_u32 s26, s26, s56
	s_addc_u32 s6, s17, s6
	s_add_u32 s2, s26, s2
	s_addc_u32 s3, s6, s3
	s_mul_i32 s6, s24, 0x3d10
	s_mul_hi_u32 s17, s24, 0x3d10
	s_add_u32 s2, s2, s6
	s_addc_u32 s3, s3, s17
	s_add_u32 s0, s2, s0
	v_readfirstlane_b32 s26, v0
	s_addc_u32 s1, s3, s1
	s_mul_i32 s6, s26, 0x3d10
	s_and_b32 s17, s0, 0x3ffffff
	s_lshl_b64 s[2:3], s[24:25], 10
	s_lshr_b64 s[0:1], s[0:1], 26
	s_add_u32 s6, s6, s68
	s_mul_hi_u32 s24, s26, 0x3d10
	s_addc_u32 s24, s24, 0
	s_add_u32 s2, s6, s2
	s_addc_u32 s3, s24, s3
	s_add_u32 s0, s2, s0
	s_addc_u32 s1, s3, s1
	s_and_b32 s6, s0, 0x3fffff
	s_lshl_b64 s[2:3], s[4:5], 14
	s_lshr_b64 s[0:1], s[0:1], 22
	s_add_u32 s0, s0, s2
	s_addc_u32 s1, s1, s3
	s_mul_hi_u32 s2, s0, 0x3d1
	s_mul_i32 s3, s1, 0x3d1
	s_add_i32 s3, s2, s3
	s_mul_i32 s2, s0, 0x3d1
	s_add_u32 s2, s2, s69
	s_addc_u32 s3, s3, 0
	s_and_b32 s56, s2, 0x3ffffff
	s_lshl_b64 s[0:1], s[0:1], 6
	s_lshr_b64 s[2:3], s[2:3], 26
	s_add_u32 s0, s0, s70
	s_addc_u32 s1, s1, 0
	s_add_u32 s0, s0, s2
	s_addc_u32 s1, s1, s3
	s_and_b32 s58, s0, 0x3ffffff
	s_lshr_b64 s[0:1], s[0:1], 26
	s_add_u32 s59, s0, s80
	s_addc_u32 s64, s1, 0
	s_mul_i32 s2, s56, s29
	s_mul_hi_u32 s3, s56, s28
	s_mul_hi_u32 s0, s59, s46
	s_mul_i32 s1, s64, s46
	s_mul_i32 s61, s7, s45
	;; [unrolled: 1-line block ×3, first 2 shown]
	s_add_i32 s3, s3, s2
	s_add_i32 s1, s0, s1
	s_mul_hi_u32 s60, s7, s45
	s_mul_hi_u32 s24, s22, s44
	s_add_u32 s0, s4, s61
	s_addc_u32 s4, s24, s60
	s_mul_i32 s24, s23, s31
	s_add_u32 s0, s0, s24
	s_mul_hi_u32 s24, s23, s31
	s_addc_u32 s4, s4, s24
	s_mul_i32 s24, s20, s30
	s_add_u32 s0, s0, s24
	s_mul_hi_u32 s24, s20, s30
	;; [unrolled: 4-line block ×5, first 2 shown]
	s_addc_u32 s4, s4, s24
	s_mul_i32 s24, s56, s28
	s_add_u32 s0, s0, s24
	s_addc_u32 s3, s4, s3
	s_mul_i32 s4, s58, s36
	s_mul_hi_u32 s24, s58, s36
	s_add_u32 s0, s0, s4
	s_addc_u32 s3, s3, s24
	s_mul_i32 s24, s59, s46
	s_add_u32 s0, s0, s24
	s_mul_i32 s4, s58, s29
	s_addc_u32 s1, s3, s1
	s_mul_hi_u32 s3, s58, s28
	s_mul_hi_u32 s24, s59, s36
	s_add_i32 s3, s3, s4
	s_mul_i32 s4, s64, s36
	s_mul_i32 s66, s7, s46
	;; [unrolled: 1-line block ×3, first 2 shown]
	s_add_i32 s24, s24, s4
	s_and_b32 s60, s0, 0x3ffffff
	s_lshr_b64 s[0:1], s[0:1], 26
	s_mul_hi_u32 s33, s7, s46
	s_mul_hi_u32 s5, s22, s45
	s_add_u32 s2, s2, s66
	s_addc_u32 s5, s5, s33
	s_mul_i32 s27, s23, s44
	s_mul_hi_u32 s4, s23, s44
	s_add_u32 s2, s2, s27
	s_addc_u32 s4, s5, s4
	s_mul_i32 s5, s20, s31
	;; [unrolled: 4-line block ×6, first 2 shown]
	s_add_u32 s2, s2, s5
	s_addc_u32 s3, s4, s3
	s_mul_i32 s4, s59, s36
	s_add_u32 s2, s2, s4
	s_addc_u32 s3, s3, s24
	s_add_u32 s0, s2, s0
	s_addc_u32 s1, s3, s1
	s_and_b32 s24, s0, 0x3ffffff
	s_mul_i32 s33, s56, s40
	s_lshr_b64 s[4:5], s[0:1], 26
	s_mul_i32 s0, s24, 0x3d10
	s_mul_hi_u32 s27, s56, s40
	s_mul_i32 s66, s59, s29
	s_mul_hi_u32 s2, s59, s28
	s_mul_hi_u32 s1, s24, 0x3d10
	s_add_u32 s0, s0, s33
	s_addc_u32 s1, s1, s27
	s_mul_i32 s3, s64, s28
	s_add_i32 s2, s2, s66
	s_mul_i32 s67, s7, s36
	s_mul_i32 s26, s22, s46
	s_and_b32 s61, s0, 0x3ffffff
	s_add_i32 s27, s2, s3
	s_lshl_b64 s[2:3], s[24:25], 10
	s_lshr_b64 s[0:1], s[0:1], 26
	s_mul_hi_u32 s65, s7, s36
	s_add_u32 s24, s26, s67
	s_mul_hi_u32 s26, s22, s46
	s_addc_u32 s26, s26, s65
	s_mul_i32 s33, s23, s45
	s_add_u32 s24, s24, s33
	s_mul_hi_u32 s33, s23, s45
	s_addc_u32 s26, s26, s33
	s_mul_i32 s33, s20, s44
	;; [unrolled: 4-line block ×6, first 2 shown]
	s_add_u32 s24, s24, s33
	s_addc_u32 s26, s26, s27
	s_add_u32 s4, s24, s4
	s_addc_u32 s5, s26, s5
	s_mul_i32 s27, s56, s39
	s_mul_i32 s33, s58, s40
	s_and_b32 s24, s4, 0x3ffffff
	s_lshr_b64 s[4:5], s[4:5], 26
	s_mul_hi_u32 s26, s56, s39
	s_add_u32 s27, s33, s27
	s_mul_hi_u32 s33, s58, s40
	s_addc_u32 s26, s33, s26
	s_add_u32 s2, s27, s2
	s_addc_u32 s3, s26, s3
	s_add_u32 s0, s2, s0
	s_addc_u32 s1, s3, s1
	s_mul_i32 s3, s24, 0x3d10
	s_mul_hi_u32 s2, s24, 0x3d10
	s_add_u32 s0, s0, s3
	s_mul_i32 s72, s7, s29
	s_mul_hi_u32 s74, s7, s28
	s_mul_hi_u32 s27, s59, s40
	s_addc_u32 s1, s1, s2
	s_mul_i32 s2, s64, s40
	s_mul_i32 s75, s7, s28
	;; [unrolled: 1-line block ×3, first 2 shown]
	s_add_i32 s27, s27, s2
	s_and_b32 s65, s0, 0x3ffffff
	s_add_i32 s74, s74, s72
	s_lshl_b64 s[2:3], s[24:25], 10
	s_lshr_b64 s[0:1], s[0:1], 26
	s_mul_hi_u32 s26, s22, s36
	s_add_u32 s24, s33, s75
	s_addc_u32 s26, s26, s74
	s_mul_i32 s66, s23, s46
	s_add_u32 s24, s24, s66
	s_mul_hi_u32 s66, s23, s46
	s_addc_u32 s26, s26, s66
	s_mul_i32 s66, s20, s45
	s_add_u32 s24, s24, s66
	s_mul_hi_u32 s66, s20, s45
	;; [unrolled: 4-line block ×5, first 2 shown]
	s_addc_u32 s26, s26, s66
	s_add_u32 s4, s24, s4
	s_addc_u32 s5, s26, s5
	s_mul_i32 s26, s56, s38
	s_mul_i32 s67, s58, s39
	s_and_b32 s24, s4, 0x3ffffff
	s_lshr_b64 s[4:5], s[4:5], 26
	s_mul_hi_u32 s66, s56, s38
	s_add_u32 s26, s67, s26
	s_mul_hi_u32 s67, s58, s39
	s_addc_u32 s66, s67, s66
	s_mul_i32 s67, s59, s40
	s_add_u32 s26, s26, s67
	s_addc_u32 s27, s66, s27
	s_add_u32 s2, s26, s2
	s_addc_u32 s3, s27, s3
	s_mul_i32 s27, s24, 0x3d10
	s_add_u32 s2, s2, s27
	s_mul_hi_u32 s27, s24, 0x3d10
	s_addc_u32 s3, s3, s27
	s_add_u32 s0, s2, s0
	s_mul_i32 s33, s22, s29
	s_mul_hi_u32 s67, s22, s28
	s_addc_u32 s1, s3, s1
	s_mul_hi_u32 s2, s59, s39
	s_mul_i32 s3, s64, s39
	s_mul_i32 s66, s22, s28
	;; [unrolled: 1-line block ×3, first 2 shown]
	s_add_i32 s27, s2, s3
	s_add_i32 s67, s67, s33
	s_and_b32 s33, s0, 0x3ffffff
	s_lshl_b64 s[2:3], s[24:25], 10
	s_lshr_b64 s[0:1], s[0:1], 26
	s_add_u32 s24, s26, s66
	s_mul_hi_u32 s26, s23, s36
	s_addc_u32 s26, s26, s67
	s_mul_i32 s66, s20, s46
	s_add_u32 s24, s24, s66
	s_mul_hi_u32 s66, s20, s46
	s_addc_u32 s26, s26, s66
	s_mul_i32 s66, s21, s45
	s_add_u32 s24, s24, s66
	s_mul_hi_u32 s66, s21, s45
	s_addc_u32 s26, s26, s66
	s_mul_i32 s66, s17, s44
	s_add_u32 s24, s24, s66
	s_mul_hi_u32 s66, s17, s44
	s_addc_u32 s26, s26, s66
	s_mul_i32 s66, s6, s31
	s_add_u32 s24, s24, s66
	s_mul_hi_u32 s66, s6, s31
	s_addc_u32 s26, s26, s66
	s_add_u32 s4, s24, s4
	s_addc_u32 s5, s26, s5
	s_mul_i32 s76, s7, s40
	s_mul_i32 s66, s56, s30
	s_and_b32 s24, s4, 0x3ffffff
	s_lshr_b64 s[4:5], s[4:5], 26
	s_mul_hi_u32 s77, s7, s40
	s_add_u32 s66, s66, s76
	s_mul_hi_u32 s67, s56, s30
	s_addc_u32 s67, s67, s77
	s_mul_i32 s70, s58, s38
	s_add_u32 s66, s66, s70
	s_mul_hi_u32 s70, s58, s38
	s_addc_u32 s67, s67, s70
	s_mul_i32 s70, s59, s39
	s_add_u32 s66, s66, s70
	s_addc_u32 s27, s67, s27
	s_add_u32 s2, s66, s2
	s_addc_u32 s3, s27, s3
	s_mul_i32 s66, s24, 0x3d10
	s_add_u32 s2, s2, s66
	s_mul_hi_u32 s66, s24, 0x3d10
	s_addc_u32 s3, s3, s66
	s_add_u32 s0, s2, s0
	s_mul_i32 s26, s23, s29
	s_mul_hi_u32 s70, s23, s28
	s_addc_u32 s1, s3, s1
	s_mul_hi_u32 s2, s59, s38
	s_mul_i32 s3, s64, s38
	s_mul_i32 s67, s23, s28
	;; [unrolled: 1-line block ×3, first 2 shown]
	s_add_i32 s74, s2, s3
	s_add_i32 s70, s70, s26
	s_and_b32 s66, s0, 0x3ffffff
	s_lshl_b64 s[2:3], s[24:25], 10
	s_lshr_b64 s[0:1], s[0:1], 26
	s_add_u32 s24, s27, s67
	s_mul_hi_u32 s26, s20, s36
	s_addc_u32 s26, s26, s70
	s_mul_i32 s27, s21, s46
	s_add_u32 s24, s24, s27
	s_mul_hi_u32 s27, s21, s46
	s_addc_u32 s26, s26, s27
	s_mul_i32 s27, s17, s45
	;; [unrolled: 4-line block ×3, first 2 shown]
	s_add_u32 s24, s24, s27
	s_mul_hi_u32 s27, s6, s44
	s_addc_u32 s26, s26, s27
	s_add_u32 s4, s24, s4
	s_addc_u32 s5, s26, s5
	s_mul_i32 s73, s7, s39
	s_mul_i32 s26, s22, s40
	s_and_b32 s24, s4, 0x3ffffff
	s_lshr_b64 s[4:5], s[4:5], 26
	s_mul_hi_u32 s68, s7, s39
	s_mul_hi_u32 s27, s22, s40
	s_add_u32 s26, s26, s73
	s_addc_u32 s27, s27, s68
	s_mul_i32 s68, s56, s31
	s_add_u32 s26, s26, s68
	s_mul_hi_u32 s68, s56, s31
	s_addc_u32 s27, s27, s68
	s_mul_i32 s68, s58, s30
	s_add_u32 s26, s26, s68
	s_mul_hi_u32 s68, s58, s30
	s_addc_u32 s27, s27, s68
	s_mul_i32 s68, s59, s38
	s_add_u32 s26, s26, s68
	s_addc_u32 s27, s27, s74
	s_add_u32 s2, s26, s2
	s_addc_u32 s3, s27, s3
	s_mul_i32 s27, s24, 0x3d10
	s_add_u32 s2, s2, s27
	s_mul_hi_u32 s27, s24, 0x3d10
	s_addc_u32 s3, s3, s27
	s_add_u32 s0, s2, s0
	s_mul_i32 s67, s20, s29
	s_mul_hi_u32 s68, s20, s28
	s_addc_u32 s1, s3, s1
	s_mul_hi_u32 s2, s59, s30
	s_mul_i32 s3, s64, s30
	s_mul_i32 s73, s20, s28
	;; [unrolled: 1-line block ×3, first 2 shown]
	s_add_i32 s27, s2, s3
	s_add_i32 s68, s68, s67
	s_and_b32 s67, s0, 0x3ffffff
	s_lshl_b64 s[2:3], s[24:25], 10
	s_lshr_b64 s[0:1], s[0:1], 26
	s_add_u32 s24, s26, s73
	s_mul_hi_u32 s26, s21, s36
	s_addc_u32 s26, s26, s68
	s_mul_i32 s68, s17, s46
	s_add_u32 s24, s24, s68
	s_mul_hi_u32 s68, s17, s46
	s_addc_u32 s26, s26, s68
	s_mul_i32 s68, s6, s45
	s_add_u32 s24, s24, s68
	s_mul_hi_u32 s68, s6, s45
	s_addc_u32 s26, s26, s68
	s_add_u32 s4, s24, s4
	s_addc_u32 s5, s26, s5
	s_mul_i32 s69, s7, s38
	s_mul_i32 s68, s22, s39
	s_and_b32 s24, s4, 0x3ffffff
	s_lshr_b64 s[4:5], s[4:5], 26
	s_mul_hi_u32 s72, s7, s38
	s_mul_hi_u32 s73, s22, s39
	s_add_u32 s68, s68, s69
	s_mul_i32 s69, s23, s40
	s_addc_u32 s72, s73, s72
	s_mul_hi_u32 s73, s23, s40
	s_add_u32 s68, s68, s69
	s_addc_u32 s72, s72, s73
	s_mul_i32 s73, s56, s44
	s_add_u32 s68, s68, s73
	s_mul_hi_u32 s73, s56, s44
	s_addc_u32 s72, s72, s73
	s_mul_i32 s73, s58, s31
	s_add_u32 s68, s68, s73
	s_mul_hi_u32 s73, s58, s31
	s_addc_u32 s72, s72, s73
	s_mul_i32 s73, s59, s30
	s_add_u32 s68, s68, s73
	s_addc_u32 s27, s72, s27
	s_add_u32 s2, s68, s2
	s_addc_u32 s3, s27, s3
	s_mul_i32 s68, s24, 0x3d10
	s_add_u32 s2, s2, s68
	s_mul_hi_u32 s68, s24, 0x3d10
	s_addc_u32 s3, s3, s68
	s_add_u32 s0, s2, s0
	s_mul_i32 s69, s21, s29
	s_mul_hi_u32 s73, s21, s28
	s_addc_u32 s1, s3, s1
	s_mul_hi_u32 s2, s59, s31
	s_mul_i32 s3, s64, s31
	s_mul_i32 s72, s21, s28
	;; [unrolled: 1-line block ×3, first 2 shown]
	s_add_i32 s74, s2, s3
	s_add_i32 s73, s73, s69
	s_and_b32 s68, s0, 0x3ffffff
	s_lshl_b64 s[2:3], s[24:25], 10
	s_lshr_b64 s[0:1], s[0:1], 26
	s_add_u32 s24, s27, s72
	s_mul_hi_u32 s27, s17, s36
	s_addc_u32 s27, s27, s73
	s_mul_i32 s69, s6, s46
	s_add_u32 s24, s24, s69
	s_mul_hi_u32 s69, s6, s46
	s_addc_u32 s27, s27, s69
	s_add_u32 s4, s24, s4
	s_addc_u32 s5, s27, s5
	s_mul_i32 s70, s7, s30
	s_mul_i32 s69, s22, s38
	s_and_b32 s24, s4, 0x3ffffff
	s_lshr_b64 s[4:5], s[4:5], 26
	s_mul_hi_u32 s26, s7, s30
	s_mul_hi_u32 s72, s22, s38
	s_add_u32 s69, s69, s70
	s_mul_i32 s70, s23, s39
	s_addc_u32 s26, s72, s26
	s_mul_hi_u32 s72, s23, s39
	s_add_u32 s69, s69, s70
	s_mul_i32 s70, s20, s40
	s_addc_u32 s26, s26, s72
	s_mul_hi_u32 s72, s20, s40
	s_add_u32 s69, s69, s70
	s_addc_u32 s26, s26, s72
	s_mul_i32 s72, s56, s45
	s_add_u32 s69, s69, s72
	s_mul_hi_u32 s72, s56, s45
	s_addc_u32 s26, s26, s72
	s_mul_i32 s72, s58, s44
	s_add_u32 s69, s69, s72
	s_mul_hi_u32 s72, s58, s44
	s_addc_u32 s26, s26, s72
	s_mul_i32 s72, s59, s31
	s_add_u32 s69, s69, s72
	s_addc_u32 s26, s26, s74
	s_add_u32 s2, s69, s2
	s_addc_u32 s3, s26, s3
	s_mul_i32 s69, s24, 0x3d10
	s_add_u32 s2, s2, s69
	s_mul_hi_u32 s69, s24, 0x3d10
	s_addc_u32 s3, s3, s69
	s_add_u32 s0, s2, s0
	s_mul_i32 s70, s17, s29
	s_mul_hi_u32 s72, s17, s28
	s_addc_u32 s1, s3, s1
	s_mul_hi_u32 s2, s59, s44
	s_mul_i32 s3, s64, s44
	s_mul_i32 s73, s17, s28
	;; [unrolled: 1-line block ×3, first 2 shown]
	s_add_i32 s74, s2, s3
	s_add_i32 s72, s72, s70
	s_and_b32 s69, s0, 0x3ffffff
	s_lshl_b64 s[2:3], s[24:25], 10
	s_lshr_b64 s[0:1], s[0:1], 26
	s_add_u32 s24, s26, s73
	s_mul_hi_u32 s26, s6, s36
	s_addc_u32 s26, s26, s72
	s_add_u32 s4, s24, s4
	s_addc_u32 s5, s26, s5
	s_mul_i32 s27, s7, s31
	s_mul_hi_u32 s26, s7, s31
	s_mul_i32 s70, s7, s44
	s_mul_hi_u32 s75, s7, s44
	s_mul_i32 s7, s22, s30
	s_and_b32 s24, s4, 0x3ffffff
	s_lshr_b64 s[72:73], s[4:5], 26
	s_add_u32 s4, s7, s27
	s_mul_hi_u32 s5, s22, s30
	s_addc_u32 s5, s5, s26
	s_mul_i32 s7, s23, s38
	s_add_u32 s4, s4, s7
	s_mul_hi_u32 s7, s23, s38
	s_addc_u32 s5, s5, s7
	s_mul_i32 s7, s20, s39
	;; [unrolled: 4-line block ×6, first 2 shown]
	s_add_u32 s4, s4, s7
	s_addc_u32 s5, s5, s74
	s_add_u32 s2, s4, s2
	s_addc_u32 s3, s5, s3
	s_mul_i32 s5, s24, 0x3d10
	s_add_u32 s2, s2, s5
	s_mul_hi_u32 s5, s24, 0x3d10
	s_addc_u32 s3, s3, s5
	s_add_u32 s0, s2, s0
	s_mul_i32 s7, s6, s29
	s_mul_hi_u32 s4, s6, s28
	s_addc_u32 s1, s3, s1
	s_mul_hi_u32 s2, s59, s45
	s_mul_i32 s64, s64, s45
	s_mul_i32 s27, s6, s28
	s_add_i32 s64, s2, s64
	s_add_i32 s3, s4, s7
	s_and_b32 s74, s0, 0x3ffffff
	s_lshl_b64 s[6:7], s[24:25], 10
	s_lshr_b64 s[4:5], s[0:1], 26
	s_add_u32 s2, s72, s27
	s_addc_u32 s3, s73, s3
	s_mul_i32 s26, s22, s31
	s_and_b32 s24, s2, 0x3ffffff
	s_lshr_b64 s[0:1], s[2:3], 26
	s_mul_hi_u32 s22, s22, s31
	s_add_u32 s26, s26, s70
	s_mul_i32 s27, s23, s30
	s_addc_u32 s22, s22, s75
	s_mul_hi_u32 s23, s23, s30
	s_add_u32 s26, s26, s27
	s_mul_i32 s70, s20, s38
	s_addc_u32 s22, s22, s23
	s_mul_hi_u32 s20, s20, s38
	s_add_u32 s26, s26, s70
	s_mul_i32 s72, s21, s39
	v_mov_b32_e32 v0, s2
	s_addc_u32 s2, s22, s20
	s_mul_hi_u32 s21, s21, s39
	s_add_u32 s22, s26, s72
	s_mul_i32 s27, s17, s40
	s_addc_u32 s2, s2, s21
	s_mul_hi_u32 s17, s17, s40
	s_add_u32 s22, s22, s27
	s_mul_i32 s23, s56, s36
	s_addc_u32 s2, s2, s17
	s_mul_hi_u32 s56, s56, s36
	s_add_u32 s17, s22, s23
	s_mul_hi_u32 s70, s58, s46
	s_mul_i32 s58, s58, s46
	s_addc_u32 s2, s2, s56
	s_add_u32 s17, s17, s58
	s_mul_i32 s59, s59, s45
	s_addc_u32 s2, s2, s70
	s_add_u32 s17, s17, s59
	s_addc_u32 s2, s2, s64
	s_add_u32 s6, s17, s6
	s_mul_i32 s26, s24, 0x3d10
	s_addc_u32 s2, s2, s7
	s_mul_hi_u32 s20, s24, 0x3d10
	s_add_u32 s6, s6, s26
	s_addc_u32 s2, s2, s20
	v_alignbit_b32 v0, s3, v0, 26
	s_add_u32 s4, s6, s4
	v_readfirstlane_b32 s21, v0
	s_addc_u32 s5, s2, s5
	s_lshr_b32 s20, s3, 26
	s_mul_i32 s27, s21, 0x3d10
	s_mul_hi_u32 s21, s21, 0x3d10
	s_mulk_i32 s20, 0x3d10
	s_and_b32 s17, s4, 0x3ffffff
	s_lshl_b64 s[6:7], s[24:25], 10
	s_lshr_b64 s[2:3], s[4:5], 26
	s_add_i32 s21, s21, s20
	s_add_u32 s4, s27, s60
	s_addc_u32 s5, s21, 0
	s_add_u32 s4, s4, s6
	s_addc_u32 s5, s5, s7
	;; [unrolled: 2-line block ×3, first 2 shown]
	s_and_b32 s4, s2, 0x3fffff
	s_lshl_b64 s[0:1], s[0:1], 14
	s_lshr_b64 s[2:3], s[2:3], 22
	s_add_u32 s0, s2, s0
	s_addc_u32 s1, s3, s1
	s_mul_hi_u32 s2, s0, 0x3d1
	s_mul_i32 s5, s1, 0x3d1
	s_mul_i32 s3, s0, 0x3d1
	s_add_i32 s5, s2, s5
	s_add_u32 s2, s3, s61
	s_addc_u32 s3, s5, 0
	s_and_b32 s5, s2, 0x3ffffff
	s_lshl_b64 s[0:1], s[0:1], 6
	s_lshr_b64 s[2:3], s[2:3], 26
	s_add_u32 s0, s0, s65
	s_addc_u32 s1, s1, 0
	s_add_u32 s0, s0, s2
	s_addc_u32 s1, s1, s3
	v_mov_b32_e32 v0, s0
	s_and_b32 s2, s0, 0x3ffffff
	v_alignbit_b32 v0, s1, v0, 26
	s_sub_i32 s3, s57, s47
	s_sub_i32 s72, s2, s87
	v_readfirstlane_b32 s2, v0
	s_sub_i32 s93, s71, s49
	s_sub_i32 s95, s11, s52
	;; [unrolled: 1-line block ×4, first 2 shown]
	s_add_i32 s11, s3, 0xffffefc
	s_add_i32 s3, s2, s33
	s_sub_i32 s5, s5, s37
	s_sub_i32 s75, s68, s12
	;; [unrolled: 1-line block ×3, first 2 shown]
	s_add_i32 s71, s71, 0xffffffc
	s_add_i32 s73, s73, 0xffffffc
	s_sub_i32 s77, s3, s34
	s_sub_i32 s0, s19, s8
	;; [unrolled: 1-line block ×3, first 2 shown]
	s_sub_i32 vcc_lo, s55, s53
	s_sub_i32 vcc_hi, s62, s9
	s_sub_i32 s6, s63, s48
	s_sub_i32 s7, s16, s50
	;; [unrolled: 1-line block ×6, first 2 shown]
	s_add_i32 s68, s5, 0xffff0bc
	s_add_i32 s75, s75, 0xffffffc
	;; [unrolled: 1-line block ×4, first 2 shown]
	s_lshl_b32 s1, s71, 1
	s_lshl_b32 s5, s73, 1
	s_add_i32 s77, s77, 0xffffffc
	s_add_i32 s10, s0, 0xffff0bc
	;; [unrolled: 1-line block ×5, first 2 shown]
	s_add_i32 vcc_lo, vcc_lo, 0xffffffc
	s_add_i32 vcc_hi, vcc_hi, 0xffffffc
	s_add_i32 s16, s6, 0xffffffc
	s_add_i32 s17, s7, 0xffffffc
	;; [unrolled: 1-line block ×6, first 2 shown]
	s_lshl_b32 s0, s68, 1
	s_lshl_b32 s2, s72, 1
	s_mul_i32 s23, s69, s1
	s_mul_i32 s24, s75, s5
	s_lshl_b32 s4, s77, 1
	s_mul_hi_u32 s22, s69, s1
	s_mul_hi_u32 s33, s75, s5
	s_add_u32 s3, s23, s24
	s_mul_i32 s55, s0, s76
	s_addc_u32 s22, s22, s33
	s_mul_hi_u32 s21, s0, s76
	s_add_u32 s3, s3, s55
	s_addc_u32 s21, s22, s21
	s_mul_i32 s22, s2, s74
	s_mul_hi_u32 s23, s2, s74
	s_add_u32 s3, s3, s22
	s_addc_u32 s21, s21, s23
	s_mul_i32 s22, s4, s70
	;; [unrolled: 4-line block ×3, first 2 shown]
	s_mul_i32 s56, s69, s5
	s_and_b32 s3, s22, 0x3ffffff
	s_lshr_b64 s[22:23], s[22:23], 26
	s_mul_hi_u32 s19, s75, s75
	s_mul_hi_u32 s57, s69, s5
	s_add_u32 s20, s56, s20
	s_mul_i32 s58, s70, s1
	s_addc_u32 s19, s57, s19
	s_mul_hi_u32 s24, s70, s1
	s_add_u32 s20, s20, s58
	s_mul_i32 s21, s2, s76
	s_addc_u32 s19, s19, s24
	;; [unrolled: 4-line block ×3, first 2 shown]
	s_mul_hi_u32 s21, s4, s74
	s_add_u32 s20, s20, s24
	s_addc_u32 s19, s19, s21
	s_add_u32 s20, s20, s22
	s_addc_u32 s21, s19, s23
	s_and_b32 s24, s20, 0x3ffffff
	s_mul_i32 s7, s68, s68
	s_lshr_b64 s[20:21], s[20:21], 26
	s_mul_i32 s22, s24, 0x3d10
	v_writelane_b32 v14, s37, 9
	s_mul_hi_u32 s6, s68, s68
	s_mul_hi_u32 s19, s24, 0x3d10
	s_add_u32 s22, s22, s7
	v_writelane_b32 v14, s41, 10
	s_addc_u32 s23, s19, s6
	s_and_b32 s6, s22, 0x3ffffff
	v_writelane_b32 v14, s6, 11
	s_lshl_b32 s6, s75, 1
	s_mul_i32 s33, s70, s5
	s_lshl_b64 s[56:57], s[24:25], 10
	s_lshr_b64 s[22:23], s[22:23], 26
	s_mul_i32 s7, s69, s6
	s_mul_hi_u32 s55, s70, s5
	s_add_u32 s7, s33, s7
	s_mul_hi_u32 s19, s69, s6
	s_mul_i32 s59, s74, s1
	s_addc_u32 s19, s55, s19
	s_mul_hi_u32 s24, s74, s1
	s_add_u32 s7, s7, s59
	s_addc_u32 s19, s19, s24
	s_mul_i32 s24, s4, s76
	s_add_u32 s7, s7, s24
	s_mul_hi_u32 s24, s4, s76
	s_addc_u32 s19, s19, s24
	s_add_u32 s20, s7, s20
	s_addc_u32 s21, s19, s21
	s_mul_i32 s33, s72, s0
	s_and_b32 s24, s20, 0x3ffffff
	s_lshr_b64 s[20:21], s[20:21], 26
	s_mul_hi_u32 s7, s72, s0
	s_add_u32 s33, s56, s33
	s_addc_u32 s7, s57, s7
	s_add_u32 s22, s33, s22
	s_mul_i32 s56, s24, 0x3d10
	s_addc_u32 s7, s7, s23
	s_mul_hi_u32 s23, s24, 0x3d10
	s_add_u32 s22, s22, s56
	s_addc_u32 s23, s7, s23
	s_mul_i32 s26, s69, s69
	s_mul_i32 s58, s70, s6
	s_and_b32 s7, s22, 0x3ffffff
	s_lshl_b64 s[56:57], s[24:25], 10
	s_lshr_b64 s[22:23], s[22:23], 26
	s_mul_hi_u32 s27, s69, s69
	v_writelane_b32 v14, s7, 12
	s_add_u32 s7, s58, s26
	s_mul_hi_u32 s24, s70, s6
	s_mul_i32 s19, s74, s5
	s_addc_u32 s24, s24, s27
	s_mul_hi_u32 s55, s74, s5
	s_add_u32 s7, s7, s19
	s_mul_i32 s26, s76, s1
	s_addc_u32 s24, s24, s55
	s_mul_hi_u32 s19, s76, s1
	s_add_u32 s7, s7, s26
	s_addc_u32 s19, s24, s19
	s_add_u32 s20, s7, s20
	s_addc_u32 s21, s19, s21
	s_mul_i32 s27, s72, s72
	s_mul_i32 s7, s77, s0
	s_and_b32 s24, s20, 0x3ffffff
	s_lshr_b64 s[20:21], s[20:21], 26
	s_mul_hi_u32 s26, s72, s72
	s_mul_hi_u32 s19, s77, s0
	s_add_u32 s7, s7, s27
	s_addc_u32 s19, s19, s26
	s_add_u32 s7, s7, s56
	s_mul_i32 s26, s24, 0x3d10
	s_addc_u32 s19, s19, s57
	s_mul_hi_u32 s55, s24, 0x3d10
	s_add_u32 s7, s7, s26
	s_addc_u32 s19, s19, s55
	s_add_u32 s22, s7, s22
	s_addc_u32 s23, s19, s23
	s_and_b32 s7, s22, 0x3ffffff
	v_writelane_b32 v14, s7, 13
	s_lshl_b32 s19, s69, 1
	s_lshr_b64 s[22:23], s[22:23], 26
	s_mul_i32 s33, s74, s6
	s_lshl_b64 s[56:57], s[24:25], 10
	v_writelane_b32 v14, s22, 14
	s_mul_i32 s7, s70, s19
	s_mul_hi_u32 s27, s74, s6
	v_writelane_b32 v14, s23, 15
	s_add_u32 s7, s33, s7
	s_mul_hi_u32 s22, s70, s19
	s_addc_u32 s22, s27, s22
	s_mul_i32 s23, s76, s5
	s_add_u32 s7, s7, s23
	s_mul_hi_u32 s5, s76, s5
	s_addc_u32 s5, s22, s5
	s_add_u32 s20, s7, s20
	s_addc_u32 s21, s5, s21
	s_mul_i32 s5, s0, s71
	s_mul_i32 s22, s77, s2
	s_and_b32 s24, s20, 0x3ffffff
	s_lshr_b64 s[20:21], s[20:21], 26
	s_mul_hi_u32 s7, s0, s71
	s_add_u32 s5, s22, s5
	s_mul_hi_u32 s22, s77, s2
	s_addc_u32 s7, s22, s7
	s_add_u32 s5, s5, s56
	s_addc_u32 s7, s7, s57
	s_mul_i32 s22, s24, 0x3d10
	s_mul_hi_u32 s23, s24, 0x3d10
	s_add_u32 s5, s5, s22
	s_mul_i32 s26, s70, s70
	s_mul_i32 s27, s74, s19
	v_writelane_b32 v14, s5, 16
	s_addc_u32 s5, s7, s23
	s_lshl_b64 s[22:23], s[24:25], 10
	v_writelane_b32 v14, s5, 17
	s_add_u32 s5, s27, s26
	s_mul_hi_u32 s7, s70, s70
	s_mul_hi_u32 s24, s74, s19
	s_addc_u32 s7, s24, s7
	s_mul_i32 s24, s76, s6
	s_add_u32 s5, s5, s24
	s_mul_hi_u32 s6, s76, s6
	s_addc_u32 s7, s7, s6
	s_add_u32 s6, s5, s20
	s_addc_u32 s7, s7, s21
	s_mul_i32 s5, s0, s73
	s_mul_i32 s21, s77, s77
	s_and_b32 s24, s6, 0x3ffffff
	s_lshr_b64 s[6:7], s[6:7], 26
	s_mul_hi_u32 s20, s0, s73
	s_add_u32 s5, s21, s5
	s_mul_hi_u32 s21, s77, s77
	s_addc_u32 s20, s21, s20
	s_mul_i32 s21, s2, s71
	s_add_u32 s5, s5, s21
	s_mul_hi_u32 s21, s2, s71
	s_addc_u32 s20, s20, s21
	s_add_u32 s5, s5, s22
	s_addc_u32 s20, s20, s23
	s_mul_i32 s21, s24, 0x3d10
	s_mul_hi_u32 s22, s24, 0x3d10
	s_add_u32 s5, s5, s21
	v_writelane_b32 v14, s5, 18
	s_addc_u32 s5, s20, s22
	v_writelane_b32 v14, s5, 19
	s_lshl_b32 s5, s70, 1
	s_mul_i32 s26, s76, s19
	s_mul_i32 s22, s74, s5
	s_lshl_b64 s[20:21], s[24:25], 10
	s_add_u32 s22, s26, s22
	s_mul_hi_u32 s19, s76, s19
	s_mul_hi_u32 s23, s74, s5
	s_addc_u32 s19, s19, s23
	s_add_u32 s6, s22, s6
	s_addc_u32 s7, s19, s7
	s_mul_i32 s19, s0, s75
	s_and_b32 s24, s6, 0x3ffffff
	s_lshr_b64 s[6:7], s[6:7], 26
	s_mul_i32 s22, s2, s73
	s_add_u32 s19, s22, s19
	s_mul_hi_u32 s22, s0, s75
	s_mul_hi_u32 s23, s2, s73
	s_addc_u32 s22, s23, s22
	s_mul_i32 s23, s4, s71
	s_add_u32 s19, s19, s23
	s_mul_hi_u32 s23, s4, s71
	s_addc_u32 s22, s22, s23
	s_add_u32 s19, s19, s20
	s_addc_u32 s20, s22, s21
	s_mul_i32 s21, s24, 0x3d10
	s_add_u32 s19, s19, s21
	v_writelane_b32 v14, s19, 20
	s_mul_hi_u32 s19, s24, 0x3d10
	s_addc_u32 s19, s20, s19
	v_writelane_b32 v14, s19, 21
	s_mul_i32 s19, s74, s74
	s_mul_i32 s22, s76, s5
	s_lshl_b64 s[20:21], s[24:25], 10
	s_add_u32 s19, s22, s19
	s_mul_hi_u32 s5, s76, s5
	s_mul_hi_u32 s22, s74, s74
	s_addc_u32 s5, s5, s22
	s_add_u32 s6, s19, s6
	s_addc_u32 s7, s5, s7
	s_and_b32 s24, s6, 0x3ffffff
	s_lshr_b64 s[6:7], s[6:7], 26
	s_mul_i32 s5, s71, s71
	s_mul_i32 s19, s0, s69
	s_add_u32 s5, s19, s5
	s_mul_hi_u32 s19, s71, s71
	s_mul_hi_u32 s22, s0, s69
	s_addc_u32 s19, s22, s19
	s_mul_i32 s22, s2, s75
	s_add_u32 s5, s5, s22
	s_mul_hi_u32 s22, s2, s75
	s_addc_u32 s19, s19, s22
	s_mul_i32 s22, s4, s73
	s_add_u32 s5, s5, s22
	s_mul_hi_u32 s22, s4, s73
	s_addc_u32 s19, s19, s22
	s_add_u32 s5, s5, s20
	s_addc_u32 s19, s19, s21
	s_mul_i32 s20, s24, 0x3d10
	s_add_u32 s5, s5, s20
	v_writelane_b32 v14, s5, 22
	s_mul_hi_u32 s5, s24, 0x3d10
	s_addc_u32 s5, s19, s5
	v_writelane_b32 v14, s5, 23
	s_lshl_b32 s5, s74, 1
	s_mul_hi_u32 s19, s5, s76
	s_mul_i32 s5, s5, s76
	s_lshl_b64 s[20:21], s[24:25], 10
	s_add_u32 s6, s6, s5
	s_addc_u32 s7, s7, s19
	s_and_b32 s24, s6, 0x3ffffff
	s_lshr_b64 s[6:7], s[6:7], 26
	s_mul_i32 s5, s0, s70
	s_mul_i32 s19, s73, s1
	s_add_u32 s5, s5, s19
	s_mul_hi_u32 s19, s0, s70
	s_mul_hi_u32 s22, s73, s1
	s_addc_u32 s19, s19, s22
	s_mul_i32 s22, s2, s69
	s_add_u32 s5, s5, s22
	s_mul_hi_u32 s22, s2, s69
	s_addc_u32 s19, s19, s22
	s_mul_i32 s22, s4, s75
	s_add_u32 s5, s5, s22
	s_mul_hi_u32 s22, s4, s75
	s_addc_u32 s19, s19, s22
	s_add_u32 s5, s5, s20
	s_addc_u32 s19, s19, s21
	s_mul_i32 s20, s24, 0x3d10
	s_add_u32 s5, s5, s20
	v_writelane_b32 v14, s5, 24
	s_mul_hi_u32 s5, s24, 0x3d10
	s_addc_u32 s5, s19, s5
	s_mul_i32 s19, s76, s76
	s_lshl_b64 s[20:21], s[24:25], 10
	v_writelane_b32 v14, s5, 25
	s_mul_hi_u32 s5, s76, s76
	s_add_u32 s6, s6, s19
	s_addc_u32 s7, s7, s5
	s_and_b32 s24, s6, 0x3ffffff
	s_mul_i32 s5, s73, s73
	s_mul_i32 s19, s75, s1
	s_lshr_b64 s[22:23], s[6:7], 26
	s_add_u32 s5, s19, s5
	s_mul_hi_u32 s1, s75, s1
	s_mul_hi_u32 s19, s73, s73
	s_addc_u32 s1, s1, s19
	s_mul_i32 s19, s0, s74
	s_add_u32 s5, s5, s19
	s_mul_hi_u32 s0, s0, s74
	s_addc_u32 s0, s1, s0
	s_mul_i32 s1, s2, s70
	s_add_u32 s1, s5, s1
	;; [unrolled: 4-line block ×3, first 2 shown]
	s_mul_hi_u32 s2, s4, s69
	s_addc_u32 s0, s0, s2
	s_add_u32 s1, s1, s20
	s_addc_u32 s0, s0, s21
	s_mul_i32 s2, s24, 0x3d10
	s_add_u32 s1, s1, s2
	v_writelane_b32 v14, s1, 26
	s_mul_hi_u32 s1, s24, 0x3d10
	v_mov_b32_e32 v0, s6
	s_addc_u32 s0, s0, s1
	v_alignbit_b32 v0, s7, v0, 26
	v_writelane_b32 v14, s0, 27
	s_lshr_b32 s0, s7, 26
	v_readfirstlane_b32 s1, v0
	s_mulk_i32 s0, 0x3d10
	s_mul_hi_u32 s2, s1, 0x3d10
	s_add_i32 s2, s2, s0
	s_mul_i32 s4, s1, 0x3d10
	s_lshl_b64 s[0:1], s[24:25], 10
	s_add_u32 s3, s4, s3
	s_addc_u32 s2, s2, 0
	s_add_u32 s0, s3, s0
	v_writelane_b32 v14, s0, 28
	s_addc_u32 s0, s2, s1
	v_writelane_b32 v14, s0, 29
	s_lshl_b64 s[0:1], s[22:23], 14
	v_writelane_b32 v14, s0, 30
	s_lshl_b32 s4, s94, 1
	s_lshl_b32 s19, s95, 1
	v_writelane_b32 v14, s1, 31
	s_lshl_b32 s3, s10, 1
	s_lshl_b32 s2, s11, 1
	;; [unrolled: 1-line block ×3, first 2 shown]
	s_mul_i32 s0, vcc_hi, s4
	s_mul_i32 s5, vcc_lo, s19
	s_add_u32 s0, s0, s5
	s_mul_hi_u32 s5, vcc_hi, s4
	s_mul_hi_u32 s6, vcc_lo, s19
	s_addc_u32 s5, s5, s6
	s_mul_i32 s6, s3, s18
	s_add_u32 s0, s0, s6
	s_mul_hi_u32 s6, s3, s18
	s_addc_u32 s5, s5, s6
	s_mul_i32 s6, s2, s17
	s_add_u32 s0, s0, s6
	s_mul_hi_u32 s6, s2, s17
	;; [unrolled: 4-line block ×3, first 2 shown]
	s_addc_u32 s7, s5, s0
	s_and_b32 s0, s6, 0x3ffffff
	s_lshr_b64 s[6:7], s[6:7], 26
	s_mul_i32 s5, vcc_lo, vcc_lo
	s_mul_i32 s20, vcc_hi, s19
	s_add_u32 s5, s20, s5
	s_mul_hi_u32 s20, vcc_lo, vcc_lo
	s_mul_hi_u32 s21, vcc_hi, s19
	s_addc_u32 s20, s21, s20
	s_mul_i32 s21, s16, s4
	s_add_u32 s5, s5, s21
	s_mul_hi_u32 s21, s16, s4
	s_addc_u32 s20, s20, s21
	s_mul_i32 s21, s2, s18
	s_add_u32 s5, s5, s21
	s_mul_hi_u32 s21, s2, s18
	;; [unrolled: 4-line block ×3, first 2 shown]
	s_addc_u32 s20, s20, s21
	s_add_u32 s6, s5, s6
	s_addc_u32 s7, s20, s7
	s_and_b32 s24, s6, 0x3ffffff
	s_lshr_b64 s[6:7], s[6:7], 26
	s_mul_i32 s5, s10, s10
	s_mul_i32 s20, s24, 0x3d10
	s_add_u32 s20, s20, s5
	s_mul_hi_u32 s5, s10, s10
	s_mul_hi_u32 s21, s24, 0x3d10
	s_addc_u32 s21, s21, s5
	s_lshl_b32 s27, vcc_lo, 1
	s_and_b32 s5, s20, 0x3ffffff
	s_lshr_b64 s[20:21], s[20:21], 26
	s_mul_i32 s26, s16, s19
	s_mul_i32 s33, vcc_hi, s27
	s_lshl_b64 s[22:23], s[24:25], 10
	s_add_u32 s24, s26, s33
	s_mul_hi_u32 s26, s16, s19
	s_mul_hi_u32 s33, vcc_hi, s27
	s_addc_u32 s26, s26, s33
	s_mul_i32 s33, s17, s4
	s_add_u32 s24, s24, s33
	s_mul_hi_u32 s33, s17, s4
	s_addc_u32 s26, s26, s33
	s_mul_i32 s33, s1, s18
	s_add_u32 s24, s24, s33
	s_mul_hi_u32 s33, s1, s18
	s_addc_u32 s26, s26, s33
	s_add_u32 s6, s24, s6
	s_addc_u32 s7, s26, s7
	s_and_b32 s24, s6, 0x3ffffff
	s_lshr_b64 s[56:57], s[6:7], 26
	s_mul_i32 s6, s11, s3
	s_add_u32 s6, s22, s6
	s_mul_hi_u32 s7, s11, s3
	s_addc_u32 s7, s23, s7
	s_add_u32 s6, s6, s20
	s_addc_u32 s7, s7, s21
	s_mul_i32 s20, s24, 0x3d10
	s_add_u32 s20, s6, s20
	s_mul_hi_u32 s6, s24, 0x3d10
	s_addc_u32 s21, s7, s6
	s_and_b32 s6, s20, 0x3ffffff
	s_lshr_b64 s[20:21], s[20:21], 26
	s_mul_i32 s7, vcc_hi, vcc_hi
	s_mul_i32 s26, s16, s27
	s_lshl_b64 s[22:23], s[24:25], 10
	s_add_u32 s7, s26, s7
	s_mul_hi_u32 s24, vcc_hi, vcc_hi
	s_mul_hi_u32 s26, s16, s27
	s_addc_u32 s24, s26, s24
	s_mul_i32 s26, s17, s19
	s_add_u32 s7, s7, s26
	s_mul_hi_u32 s26, s17, s19
	s_addc_u32 s24, s24, s26
	s_mul_i32 s26, s18, s4
	s_add_u32 s7, s7, s26
	s_mul_hi_u32 s26, s18, s4
	s_addc_u32 s24, s24, s26
	s_add_u32 s56, s7, s56
	s_addc_u32 s57, s24, s57
	s_and_b32 s24, s56, 0x3ffffff
	s_lshr_b64 s[56:57], s[56:57], 26
	s_mul_i32 s7, s11, s11
	s_mul_i32 s26, s93, s3
	s_add_u32 s7, s26, s7
	s_mul_hi_u32 s26, s11, s11
	s_mul_hi_u32 s33, s93, s3
	s_addc_u32 s26, s33, s26
	s_add_u32 s7, s7, s22
	s_addc_u32 s22, s26, s23
	s_mul_i32 s23, s24, 0x3d10
	s_add_u32 s7, s7, s23
	s_mul_hi_u32 s23, s24, 0x3d10
	s_addc_u32 s22, s22, s23
	s_add_u32 s20, s7, s20
	s_addc_u32 s21, s22, s21
	s_lshl_b32 s33, vcc_hi, 1
	s_and_b32 s7, s20, 0x3ffffff
	s_lshr_b64 s[20:21], s[20:21], 26
	s_mul_i32 s26, s17, s27
	s_mul_i32 s55, s16, s33
	s_lshl_b64 s[22:23], s[24:25], 10
	s_add_u32 s24, s26, s55
	s_mul_hi_u32 s26, s17, s27
	s_mul_hi_u32 s55, s16, s33
	s_addc_u32 s26, s26, s55
	s_mul_i32 s55, s18, s19
	s_add_u32 s24, s24, s55
	s_mul_hi_u32 s19, s18, s19
	s_addc_u32 s19, s26, s19
	s_add_u32 s56, s24, s56
	s_addc_u32 s57, s19, s57
	s_and_b32 s24, s56, 0x3ffffff
	s_lshr_b64 s[56:57], s[56:57], 26
	s_mul_i32 s19, s3, s94
	s_mul_i32 s26, s93, s2
	s_add_u32 s19, s26, s19
	s_mul_hi_u32 s26, s3, s94
	s_mul_hi_u32 s55, s93, s2
	s_addc_u32 s26, s55, s26
	s_add_u32 s19, s19, s22
	s_addc_u32 s22, s26, s23
	s_mul_i32 s23, s24, 0x3d10
	s_add_u32 s19, s19, s23
	s_mul_hi_u32 s23, s24, 0x3d10
	s_addc_u32 s22, s22, s23
	s_add_u32 s20, s19, s20
	s_addc_u32 s21, s22, s21
	s_and_b32 s19, s20, 0x3ffffff
	s_lshr_b64 s[20:21], s[20:21], 26
	s_mul_i32 s26, s16, s16
	s_mul_i32 s55, s17, s33
	s_lshl_b64 s[22:23], s[24:25], 10
	s_add_u32 s24, s55, s26
	s_mul_hi_u32 s26, s16, s16
	s_mul_hi_u32 s55, s17, s33
	s_addc_u32 s26, s55, s26
	s_mul_i32 s55, s18, s27
	s_add_u32 s24, s24, s55
	s_mul_hi_u32 s27, s18, s27
	s_addc_u32 s26, s26, s27
	s_add_u32 s56, s24, s56
	s_addc_u32 s57, s26, s57
	s_and_b32 s24, s56, 0x3ffffff
	s_lshr_b64 s[58:59], s[56:57], 26
	s_mul_i32 s26, s93, s93
	s_mul_i32 s27, s3, s95
	s_add_u32 s26, s26, s27
	s_mul_hi_u32 s27, s93, s93
	s_mul_hi_u32 s55, s3, s95
	s_addc_u32 s27, s27, s55
	s_mul_i32 s55, s2, s94
	s_add_u32 s26, s26, s55
	s_mul_hi_u32 s55, s2, s94
	s_addc_u32 s27, s27, s55
	s_add_u32 s22, s26, s22
	s_addc_u32 s23, s27, s23
	s_mul_i32 s26, s24, 0x3d10
	s_add_u32 s22, s22, s26
	s_mul_hi_u32 s26, s24, 0x3d10
	s_addc_u32 s23, s23, s26
	s_add_u32 s20, s22, s20
	s_addc_u32 s21, s23, s21
	s_lshl_b32 s27, s16, 1
	s_and_b32 s57, s20, 0x3ffffff
	s_lshr_b64 s[20:21], s[20:21], 26
	s_mul_i32 s26, s18, s33
	s_mul_i32 s55, s17, s27
	s_lshl_b64 s[22:23], s[24:25], 10
	s_add_u32 s24, s26, s55
	s_mul_hi_u32 s26, s18, s33
	s_mul_hi_u32 s33, s17, s27
	s_addc_u32 s26, s26, s33
	s_add_u32 s58, s24, s58
	s_addc_u32 s59, s26, s59
	s_and_b32 s24, s58, 0x3ffffff
	s_lshr_b64 s[60:61], s[58:59], 26
	s_mul_i32 s26, s3, vcc_lo
	s_mul_i32 s33, s2, s95
	s_add_u32 s26, s33, s26
	s_mul_hi_u32 s33, s3, vcc_lo
	s_mul_hi_u32 s55, s2, s95
	s_addc_u32 s33, s55, s33
	s_mul_i32 s55, s1, s94
	s_add_u32 s26, s26, s55
	s_mul_hi_u32 s55, s1, s94
	s_addc_u32 s33, s33, s55
	s_add_u32 s22, s26, s22
	s_addc_u32 s23, s33, s23
	s_mul_i32 s26, s24, 0x3d10
	s_add_u32 s22, s22, s26
	s_mul_hi_u32 s26, s24, 0x3d10
	s_addc_u32 s23, s23, s26
	s_add_u32 s20, s22, s20
	s_addc_u32 s21, s23, s21
	s_and_b32 s58, s20, 0x3ffffff
	s_lshr_b64 s[20:21], s[20:21], 26
	s_mul_i32 s26, s17, s17
	s_mul_i32 s33, s18, s27
	s_lshl_b64 s[22:23], s[24:25], 10
	s_add_u32 s24, s33, s26
	s_mul_hi_u32 s26, s18, s27
	s_mul_hi_u32 s27, s17, s17
	s_addc_u32 s26, s26, s27
	s_add_u32 s60, s24, s60
	s_addc_u32 s61, s26, s61
	s_and_b32 s24, s60, 0x3ffffff
	s_lshr_b64 s[60:61], s[60:61], 26
	s_mul_i32 s26, s94, s94
	s_mul_i32 s27, s3, vcc_hi
	s_add_u32 s26, s27, s26
	s_mul_hi_u32 s27, s94, s94
	s_mul_hi_u32 s33, s3, vcc_hi
	s_addc_u32 s27, s33, s27
	s_mul_i32 s33, s2, vcc_lo
	s_add_u32 s26, s26, s33
	s_mul_hi_u32 s33, s2, vcc_lo
	s_addc_u32 s27, s27, s33
	s_mul_i32 s33, s1, s95
	s_add_u32 s26, s26, s33
	s_mul_hi_u32 s33, s1, s95
	s_addc_u32 s27, s27, s33
	s_add_u32 s22, s26, s22
	s_addc_u32 s23, s27, s23
	s_mul_i32 s26, s24, 0x3d10
	s_add_u32 s22, s22, s26
	s_mul_hi_u32 s26, s24, 0x3d10
	s_addc_u32 s23, s23, s26
	s_add_u32 s20, s22, s20
	s_addc_u32 s21, s23, s21
	s_lshl_b32 s22, s17, 1
	s_and_b32 s59, s20, 0x3ffffff
	s_lshr_b64 s[20:21], s[20:21], 26
	s_mul_hi_u32 s26, s22, s18
	s_mul_i32 s27, s22, s18
	s_lshl_b64 s[22:23], s[24:25], 10
	s_add_u32 s60, s60, s27
	s_addc_u32 s61, s61, s26
	s_and_b32 s24, s60, 0x3ffffff
	s_lshr_b64 s[62:63], s[60:61], 26
	s_mul_i32 s26, s3, s16
	s_mul_i32 s27, s95, s4
	s_add_u32 s26, s26, s27
	s_mul_hi_u32 s27, s3, s16
	s_mul_hi_u32 s33, s95, s4
	s_addc_u32 s27, s27, s33
	s_mul_i32 s33, s2, vcc_hi
	s_add_u32 s26, s26, s33
	s_mul_hi_u32 s33, s2, vcc_hi
	s_addc_u32 s27, s27, s33
	s_mul_i32 s33, s1, vcc_lo
	s_add_u32 s26, s26, s33
	s_mul_hi_u32 s33, s1, vcc_lo
	s_addc_u32 s27, s27, s33
	s_add_u32 s22, s26, s22
	s_addc_u32 s23, s27, s23
	s_mul_i32 s26, s24, 0x3d10
	s_add_u32 s22, s22, s26
	s_mul_hi_u32 s26, s24, 0x3d10
	s_addc_u32 s23, s23, s26
	s_add_u32 s20, s22, s20
	s_addc_u32 s21, s23, s21
	s_and_b32 s60, s20, 0x3ffffff
	s_lshr_b64 s[20:21], s[20:21], 26
	s_mul_i32 s27, s18, s18
	s_lshl_b64 s[22:23], s[24:25], 10
	s_mul_hi_u32 s26, s18, s18
	s_add_u32 s62, s62, s27
	s_addc_u32 s63, s63, s26
	s_and_b32 s24, s62, 0x3ffffff
	s_mul_i32 s26, s95, s95
	s_mul_i32 s27, vcc_lo, s4
	s_lshr_b64 s[64:65], s[62:63], 26
	s_add_u32 s26, s27, s26
	s_mul_hi_u32 s4, vcc_lo, s4
	s_mul_hi_u32 s27, s95, s95
	s_addc_u32 s4, s4, s27
	s_mul_i32 s27, s3, s17
	s_add_u32 s26, s26, s27
	s_mul_hi_u32 s3, s3, s17
	s_addc_u32 s3, s4, s3
	s_mul_i32 s4, s2, s16
	s_add_u32 s4, s26, s4
	s_mul_hi_u32 s2, s2, s16
	s_addc_u32 s2, s3, s2
	s_mul_i32 s3, s1, vcc_hi
	s_add_u32 s3, s4, s3
	s_mul_hi_u32 s1, s1, vcc_hi
	s_addc_u32 s1, s2, s1
	s_add_u32 s2, s3, s22
	s_addc_u32 s1, s1, s23
	s_mul_i32 s3, s24, 0x3d10
	s_add_u32 s2, s2, s3
	s_mul_hi_u32 s3, s24, 0x3d10
	s_addc_u32 s1, s1, s3
	v_mov_b32_e32 v0, s62
	s_add_u32 s2, s2, s20
	v_alignbit_b32 v0, s63, v0, 26
	s_addc_u32 s3, s1, s21
	s_lshr_b32 s1, s63, 26
	v_readfirstlane_b32 s4, v0
	s_mulk_i32 s1, 0x3d10
	s_mul_hi_u32 s20, s4, 0x3d10
	s_add_i32 s1, s20, s1
	s_mulk_i32 s4, 0x3d10
	s_and_b32 s33, s2, 0x3ffffff
	s_lshr_b64 s[2:3], s[2:3], 26
	s_lshl_b64 s[20:21], s[24:25], 10
	s_add_u32 s0, s4, s0
	s_addc_u32 s1, s1, 0
	s_add_u32 s0, s0, s20
	s_addc_u32 s1, s1, s21
	;; [unrolled: 2-line block ×3, first 2 shown]
	s_lshl_b64 s[2:3], s[64:65], 14
	s_and_b32 s82, s0, 0x3fffff
	s_lshr_b64 s[0:1], s[0:1], 22
	s_add_u32 s0, s0, s2
	s_addc_u32 s1, s1, s3
	s_mul_hi_u32 s2, s0, 0x3d1
	s_mul_i32 s3, s1, 0x3d1
	s_add_i32 s3, s2, s3
	s_mul_i32 s2, s0, 0x3d1
	s_add_u32 s2, s2, s5
	s_addc_u32 s3, s3, 0
	s_lshl_b64 s[0:1], s[0:1], 6
	s_and_b32 s79, s2, 0x3ffffff
	s_lshr_b64 s[2:3], s[2:3], 26
	s_add_u32 s0, s0, s6
	s_addc_u32 s1, s1, 0
	s_add_u32 s0, s0, s2
	s_addc_u32 s1, s1, s3
	s_and_b32 s81, s0, 0x3ffffff
	s_lshr_b64 s[0:1], s[0:1], 26
	s_add_u32 s83, s0, s7
	s_addc_u32 s56, s1, 0
	s_mul_hi_u32 s0, s83, s16
	s_mul_i32 s1, s56, s16
	s_add_i32 s0, s0, s1
	s_mul_i32 s1, s19, vcc_hi
	s_mul_i32 s2, s57, vcc_lo
	s_add_u32 s1, s2, s1
	s_mul_hi_u32 s2, s19, vcc_hi
	s_mul_hi_u32 s3, s57, vcc_lo
	s_addc_u32 s2, s3, s2
	s_mul_i32 s3, s58, s95
	s_add_u32 s1, s1, s3
	s_mul_hi_u32 s3, s58, s95
	s_addc_u32 s2, s2, s3
	s_mul_i32 s3, s59, s94
	s_add_u32 s1, s1, s3
	s_mul_hi_u32 s3, s59, s94
	;; [unrolled: 4-line block ×7, first 2 shown]
	s_addc_u32 s3, s2, s3
	s_mul_i32 s2, s83, s16
	s_add_u32 s2, s1, s2
	s_addc_u32 s3, s3, s0
	s_mul_hi_u32 s0, s83, s17
	s_mul_i32 s1, s56, s17
	s_add_i32 s1, s0, s1
	s_and_b32 s0, s2, 0x3ffffff
	s_lshr_b64 s[2:3], s[2:3], 26
	s_mul_i32 s4, s19, s16
	s_mul_i32 s5, s57, vcc_hi
	s_add_u32 s4, s5, s4
	s_mul_hi_u32 s5, s19, s16
	s_mul_hi_u32 s6, s57, vcc_hi
	s_addc_u32 s5, s6, s5
	s_mul_i32 s6, s58, vcc_lo
	s_add_u32 s4, s4, s6
	s_mul_hi_u32 s6, s58, vcc_lo
	s_addc_u32 s5, s5, s6
	s_mul_i32 s6, s59, s95
	s_add_u32 s4, s4, s6
	s_mul_hi_u32 s6, s59, s95
	s_addc_u32 s5, s5, s6
	s_mul_i32 s6, s60, s94
	s_add_u32 s4, s4, s6
	s_mul_hi_u32 s6, s60, s94
	;; [unrolled: 4-line block ×5, first 2 shown]
	s_addc_u32 s5, s5, s6
	s_mul_i32 s6, s83, s17
	s_add_u32 s4, s4, s6
	s_addc_u32 s1, s5, s1
	s_add_u32 s2, s4, s2
	s_addc_u32 s3, s1, s3
	s_and_b32 s24, s2, 0x3ffffff
	s_lshr_b64 s[2:3], s[2:3], 26
	s_mul_i32 s1, s79, s10
	s_mul_i32 s4, s24, 0x3d10
	s_add_u32 s4, s4, s1
	s_mul_hi_u32 s1, s79, s10
	s_mul_hi_u32 s5, s24, 0x3d10
	s_addc_u32 s5, s5, s1
	s_mul_hi_u32 s1, s83, s18
	s_mul_i32 s6, s56, s18
	s_add_i32 s1, s1, s6
	s_and_b32 s6, s4, 0x3ffffff
	v_writelane_b32 v14, s6, 32
	s_lshr_b64 s[4:5], s[4:5], 26
	s_mul_i32 s20, s19, s17
	s_mul_i32 s21, s57, s16
	s_lshl_b64 s[6:7], s[24:25], 10
	s_add_u32 s20, s21, s20
	s_mul_hi_u32 s21, s19, s17
	s_mul_hi_u32 s22, s57, s16
	s_addc_u32 s21, s22, s21
	s_mul_i32 s22, s58, vcc_hi
	s_add_u32 s20, s20, s22
	s_mul_hi_u32 s22, s58, vcc_hi
	s_addc_u32 s21, s21, s22
	s_mul_i32 s22, s59, vcc_lo
	s_add_u32 s20, s20, s22
	s_mul_hi_u32 s22, s59, vcc_lo
	s_addc_u32 s21, s21, s22
	s_mul_i32 s22, s60, s95
	s_add_u32 s20, s20, s22
	s_mul_hi_u32 s22, s60, s95
	s_addc_u32 s21, s21, s22
	s_mul_i32 s22, s33, s94
	s_add_u32 s20, s20, s22
	s_mul_hi_u32 s22, s33, s94
	;; [unrolled: 4-line block ×3, first 2 shown]
	s_addc_u32 s21, s21, s22
	s_mul_i32 s22, s83, s18
	s_add_u32 s20, s20, s22
	s_addc_u32 s1, s21, s1
	s_add_u32 s2, s20, s2
	s_addc_u32 s3, s1, s3
	s_and_b32 s24, s2, 0x3ffffff
	s_lshr_b64 s[2:3], s[2:3], 26
	s_mul_i32 s1, s79, s11
	s_mul_i32 s20, s81, s10
	s_add_u32 s1, s20, s1
	s_mul_hi_u32 s20, s79, s11
	s_mul_hi_u32 s21, s81, s10
	s_addc_u32 s20, s21, s20
	s_add_u32 s1, s1, s6
	s_addc_u32 s6, s20, s7
	s_add_u32 s1, s1, s4
	s_addc_u32 s5, s6, s5
	s_mul_i32 s4, s24, 0x3d10
	s_add_u32 s4, s1, s4
	s_mul_hi_u32 s1, s24, 0x3d10
	s_addc_u32 s5, s5, s1
	s_mul_hi_u32 s1, s83, s10
	s_mul_i32 s6, s56, s10
	s_add_i32 s1, s1, s6
	s_and_b32 s6, s4, 0x3ffffff
	v_writelane_b32 v14, s6, 33
	s_lshr_b64 s[4:5], s[4:5], 26
	s_mul_i32 s20, s19, s18
	s_mul_i32 s21, s57, s17
	s_lshl_b64 s[6:7], s[24:25], 10
	s_add_u32 s20, s21, s20
	s_mul_hi_u32 s21, s19, s18
	s_mul_hi_u32 s22, s57, s17
	s_addc_u32 s21, s22, s21
	s_mul_i32 s22, s58, s16
	s_add_u32 s20, s20, s22
	s_mul_hi_u32 s22, s58, s16
	s_addc_u32 s21, s21, s22
	s_mul_i32 s22, s59, vcc_hi
	s_add_u32 s20, s20, s22
	s_mul_hi_u32 s22, s59, vcc_hi
	s_addc_u32 s21, s21, s22
	s_mul_i32 s22, s60, vcc_lo
	s_add_u32 s20, s20, s22
	s_mul_hi_u32 s22, s60, vcc_lo
	s_addc_u32 s21, s21, s22
	s_mul_i32 s22, s33, s95
	s_add_u32 s20, s20, s22
	s_mul_hi_u32 s22, s33, s95
	s_addc_u32 s21, s21, s22
	s_mul_i32 s22, s82, s94
	s_add_u32 s20, s20, s22
	s_mul_hi_u32 s22, s82, s94
	s_addc_u32 s21, s21, s22
	s_add_u32 s2, s20, s2
	s_addc_u32 s3, s21, s3
	s_and_b32 s24, s2, 0x3ffffff
	s_lshr_b64 s[2:3], s[2:3], 26
	s_mul_i32 s20, s79, s93
	s_mul_i32 s21, s81, s11
	s_add_u32 s20, s21, s20
	s_mul_hi_u32 s21, s79, s93
	s_mul_hi_u32 s22, s81, s11
	s_addc_u32 s21, s22, s21
	s_mul_i32 s22, s83, s10
	s_add_u32 s20, s20, s22
	s_addc_u32 s1, s21, s1
	s_add_u32 s6, s20, s6
	s_addc_u32 s1, s1, s7
	s_mul_i32 s7, s24, 0x3d10
	s_add_u32 s6, s6, s7
	s_mul_hi_u32 s7, s24, 0x3d10
	s_addc_u32 s1, s1, s7
	s_add_u32 s4, s6, s4
	s_addc_u32 s5, s1, s5
	s_mul_hi_u32 s1, s83, s11
	s_mul_i32 s6, s56, s11
	s_add_i32 s1, s1, s6
	s_and_b32 s6, s4, 0x3ffffff
	v_writelane_b32 v14, s6, 34
	s_lshr_b64 s[4:5], s[4:5], 26
	s_mul_i32 s20, s57, s18
	s_mul_i32 s21, s58, s17
	s_lshl_b64 s[6:7], s[24:25], 10
	s_add_u32 s20, s21, s20
	s_mul_hi_u32 s21, s57, s18
	s_mul_hi_u32 s22, s58, s17
	s_addc_u32 s21, s22, s21
	s_mul_i32 s22, s59, s16
	s_add_u32 s20, s20, s22
	s_mul_hi_u32 s22, s59, s16
	s_addc_u32 s21, s21, s22
	s_mul_i32 s22, s60, vcc_hi
	s_add_u32 s20, s20, s22
	s_mul_hi_u32 s22, s60, vcc_hi
	s_addc_u32 s21, s21, s22
	s_mul_i32 s22, s33, vcc_lo
	s_add_u32 s20, s20, s22
	s_mul_hi_u32 s22, s33, vcc_lo
	s_addc_u32 s21, s21, s22
	s_mul_i32 s22, s82, s95
	s_add_u32 s20, s20, s22
	s_mul_hi_u32 s22, s82, s95
	s_addc_u32 s21, s21, s22
	s_add_u32 s2, s20, s2
	s_addc_u32 s3, s21, s3
	s_and_b32 s24, s2, 0x3ffffff
	s_lshr_b64 s[2:3], s[2:3], 26
	s_mul_i32 s20, s19, s10
	s_mul_i32 s21, s79, s94
	s_add_u32 s20, s21, s20
	s_mul_hi_u32 s21, s19, s10
	s_mul_hi_u32 s22, s79, s94
	s_addc_u32 s21, s22, s21
	s_mul_i32 s22, s81, s93
	s_add_u32 s20, s20, s22
	s_mul_hi_u32 s22, s81, s93
	s_addc_u32 s21, s21, s22
	s_mul_i32 s22, s83, s11
	s_add_u32 s20, s20, s22
	s_addc_u32 s1, s21, s1
	s_add_u32 s6, s20, s6
	s_addc_u32 s1, s1, s7
	s_mul_i32 s7, s24, 0x3d10
	s_add_u32 s6, s6, s7
	v_writelane_b32 v14, s6, 35
	s_mul_hi_u32 s6, s24, 0x3d10
	s_addc_u32 s1, s1, s6
	v_writelane_b32 v14, s1, 36
	s_mul_hi_u32 s1, s83, s93
	s_mul_i32 s6, s56, s93
	s_add_i32 s1, s1, s6
	s_mul_i32 s20, s58, s18
	s_mul_i32 s21, s59, s17
	s_lshl_b64 s[6:7], s[24:25], 10
	s_add_u32 s20, s21, s20
	s_mul_hi_u32 s21, s58, s18
	s_mul_hi_u32 s22, s59, s17
	s_addc_u32 s21, s22, s21
	s_mul_i32 s22, s60, s16
	s_add_u32 s20, s20, s22
	s_mul_hi_u32 s22, s60, s16
	s_addc_u32 s21, s21, s22
	s_mul_i32 s22, s33, vcc_hi
	s_add_u32 s20, s20, s22
	s_mul_hi_u32 s22, s33, vcc_hi
	s_addc_u32 s21, s21, s22
	s_mul_i32 s22, s82, vcc_lo
	s_add_u32 s20, s20, s22
	s_mul_hi_u32 s22, s82, vcc_lo
	s_addc_u32 s21, s21, s22
	s_add_u32 s2, s20, s2
	s_addc_u32 s3, s21, s3
	s_and_b32 s24, s2, 0x3ffffff
	s_lshr_b64 s[2:3], s[2:3], 26
	s_mul_i32 s20, s19, s11
	s_mul_i32 s21, s57, s10
	s_add_u32 s20, s21, s20
	s_mul_hi_u32 s21, s19, s11
	s_mul_hi_u32 s22, s57, s10
	s_addc_u32 s21, s22, s21
	s_mul_i32 s22, s79, s95
	s_add_u32 s20, s20, s22
	s_mul_hi_u32 s22, s79, s95
	s_addc_u32 s21, s21, s22
	s_mul_i32 s22, s81, s94
	s_add_u32 s20, s20, s22
	;; [unrolled: 4-line block ×3, first 2 shown]
	s_addc_u32 s1, s21, s1
	s_add_u32 s6, s20, s6
	s_addc_u32 s1, s1, s7
	s_mul_i32 s7, s24, 0x3d10
	s_add_u32 s62, s6, s7
	s_mul_hi_u32 s6, s24, 0x3d10
	s_addc_u32 s61, s1, s6
	s_mul_hi_u32 s1, s83, s94
	s_mul_i32 s6, s56, s94
	s_add_i32 s1, s1, s6
	s_mul_i32 s20, s59, s18
	s_mul_i32 s21, s60, s17
	s_lshl_b64 s[6:7], s[24:25], 10
	s_add_u32 s20, s21, s20
	s_mul_hi_u32 s21, s59, s18
	s_mul_hi_u32 s22, s60, s17
	s_addc_u32 s21, s22, s21
	s_mul_i32 s22, s33, s16
	s_add_u32 s20, s20, s22
	s_mul_hi_u32 s22, s33, s16
	s_addc_u32 s21, s21, s22
	s_mul_i32 s22, s82, vcc_hi
	s_add_u32 s20, s20, s22
	s_mul_hi_u32 s22, s82, vcc_hi
	s_addc_u32 s21, s21, s22
	s_add_u32 s2, s20, s2
	s_addc_u32 s3, s21, s3
	s_and_b32 s24, s2, 0x3ffffff
	s_lshr_b64 s[20:21], s[2:3], 26
	s_mul_i32 s2, s19, s93
	s_mul_i32 s3, s57, s11
	s_add_u32 s2, s3, s2
	s_mul_hi_u32 s3, s19, s93
	s_mul_hi_u32 s22, s57, s11
	s_addc_u32 s3, s22, s3
	s_mul_i32 s22, s58, s10
	s_add_u32 s2, s2, s22
	s_mul_hi_u32 s22, s58, s10
	s_addc_u32 s3, s3, s22
	s_mul_i32 s22, s79, vcc_lo
	s_add_u32 s2, s2, s22
	s_mul_hi_u32 s22, s79, vcc_lo
	s_addc_u32 s3, s3, s22
	s_mul_i32 s22, s81, s95
	s_add_u32 s2, s2, s22
	s_mul_hi_u32 s22, s81, s95
	s_addc_u32 s3, s3, s22
	s_mul_i32 s22, s83, s94
	s_add_u32 s2, s2, s22
	s_addc_u32 s1, s3, s1
	s_add_u32 s2, s2, s6
	s_addc_u32 s1, s1, s7
	s_mul_i32 s3, s24, 0x3d10
	s_add_u32 s55, s2, s3
	s_mul_hi_u32 s2, s24, 0x3d10
	s_addc_u32 s22, s1, s2
	s_mul_hi_u32 s1, s83, s95
	s_mul_i32 s2, s56, s95
	s_add_i32 s1, s1, s2
	s_mul_i32 s2, s60, s18
	s_mul_i32 s3, s33, s17
	s_lshl_b64 s[6:7], s[24:25], 10
	s_add_u32 s2, s3, s2
	s_mul_hi_u32 s3, s60, s18
	s_mul_hi_u32 s23, s33, s17
	s_addc_u32 s3, s23, s3
	s_mul_i32 s23, s82, s16
	s_add_u32 s2, s2, s23
	s_mul_hi_u32 s23, s82, s16
	s_addc_u32 s3, s3, s23
	s_add_u32 s20, s2, s20
	s_addc_u32 s21, s3, s21
	s_and_b32 s24, s20, 0x3ffffff
	s_lshr_b64 s[20:21], s[20:21], 26
	s_mul_i32 s2, s19, s94
	s_mul_i32 s3, s57, s93
	s_add_u32 s2, s3, s2
	s_mul_hi_u32 s3, s19, s94
	s_mul_hi_u32 s23, s57, s93
	s_addc_u32 s3, s23, s3
	s_mul_i32 s23, s58, s11
	s_add_u32 s2, s2, s23
	s_mul_hi_u32 s23, s58, s11
	s_addc_u32 s3, s3, s23
	s_mul_i32 s23, s59, s10
	s_add_u32 s2, s2, s23
	s_mul_hi_u32 s23, s59, s10
	s_addc_u32 s3, s3, s23
	s_mul_i32 s23, s79, vcc_hi
	s_add_u32 s2, s2, s23
	s_mul_hi_u32 s23, s79, vcc_hi
	s_addc_u32 s3, s3, s23
	s_mul_i32 s23, s81, vcc_lo
	s_add_u32 s2, s2, s23
	s_mul_hi_u32 s23, s81, vcc_lo
	s_addc_u32 s3, s3, s23
	s_mul_i32 s23, s83, s95
	s_add_u32 s2, s2, s23
	s_addc_u32 s1, s3, s1
	s_add_u32 s2, s2, s6
	s_addc_u32 s1, s1, s7
	s_mul_i32 s3, s24, 0x3d10
	s_add_u32 s80, s2, s3
	s_mul_hi_u32 s2, s24, 0x3d10
	s_addc_u32 s78, s1, s2
	s_mul_hi_u32 s1, s83, vcc_lo
	s_mul_i32 s2, s56, vcc_lo
	s_add_i32 s1, s1, s2
	s_mul_i32 s2, s33, s18
	s_mul_i32 s3, s82, s17
	s_lshl_b64 s[6:7], s[24:25], 10
	s_add_u32 s2, s3, s2
	s_mul_hi_u32 s3, s33, s18
	s_mul_hi_u32 s23, s82, s17
	s_addc_u32 s3, s23, s3
	s_add_u32 s20, s2, s20
	s_addc_u32 s21, s3, s21
	s_and_b32 s24, s20, 0x3ffffff
	s_lshr_b64 s[64:65], s[20:21], 26
	s_mul_i32 s2, s19, s95
	s_mul_i32 s3, s57, s94
	s_add_u32 s2, s3, s2
	s_mul_hi_u32 s3, s19, s95
	s_mul_hi_u32 s20, s57, s94
	s_addc_u32 s3, s20, s3
	s_mul_i32 s20, s58, s93
	s_add_u32 s2, s2, s20
	s_mul_hi_u32 s20, s58, s93
	s_addc_u32 s3, s3, s20
	s_mul_i32 s20, s59, s11
	s_add_u32 s2, s2, s20
	;; [unrolled: 4-line block ×4, first 2 shown]
	s_mul_hi_u32 s20, s79, s16
	s_addc_u32 s3, s3, s20
	s_mul_i32 s20, s81, vcc_hi
	s_add_u32 s2, s2, s20
	s_mul_hi_u32 s20, s81, vcc_hi
	s_addc_u32 s3, s3, s20
	s_mul_i32 s20, s83, vcc_lo
	s_add_u32 s2, s2, s20
	s_addc_u32 s1, s3, s1
	s_add_u32 s2, s2, s6
	s_addc_u32 s1, s1, s7
	s_mul_i32 s3, s24, 0x3d10
	s_add_u32 s85, s2, s3
	s_mul_hi_u32 s2, s24, 0x3d10
	s_addc_u32 s20, s1, s2
	s_mul_hi_u32 s1, s83, vcc_hi
	s_mul_i32 s2, s56, vcc_hi
	s_add_i32 s1, s1, s2
	s_mul_i32 s3, s82, s18
	s_lshl_b64 s[6:7], s[24:25], 10
	s_mul_hi_u32 s2, s82, s18
	s_add_u32 s64, s64, s3
	s_addc_u32 s65, s65, s2
	v_mov_b32_e32 v0, s64
	s_and_b32 s24, s64, 0x3ffffff
	v_alignbit_b32 v0, s65, v0, 26
	s_lshr_b64 s[64:65], s[64:65], 26
	s_mul_i32 s2, s19, vcc_lo
	s_mul_i32 s3, s57, s95
	s_add_u32 s2, s3, s2
	s_mul_hi_u32 s3, s19, vcc_lo
	s_mul_hi_u32 s21, s57, s95
	s_addc_u32 s3, s21, s3
	s_mul_i32 s21, s58, s94
	s_add_u32 s2, s2, s21
	s_mul_hi_u32 s21, s58, s94
	s_addc_u32 s3, s3, s21
	s_mul_i32 s21, s59, s93
	s_add_u32 s2, s2, s21
	;; [unrolled: 4-line block ×6, first 2 shown]
	s_mul_hi_u32 s21, s81, s16
	s_addc_u32 s3, s3, s21
	s_mul_i32 s21, s83, vcc_hi
	s_add_u32 s2, s2, s21
	s_addc_u32 s1, s3, s1
	s_add_u32 s2, s2, s6
	s_addc_u32 s1, s1, s7
	s_mul_i32 s3, s24, 0x3d10
	s_add_u32 s21, s2, s3
	s_mul_hi_u32 s2, s24, 0x3d10
	s_addc_u32 s3, s1, s2
	v_readfirstlane_b32 s1, v0
	s_mul_i32 s2, s1, 0x3d10
	s_lshl_b64 s[6:7], s[24:25], 10
	s_add_u32 s0, s2, s0
	s_mul_hi_u32 s1, s1, 0x3d10
	s_addc_u32 s1, s1, 0
	s_mov_b32 s42, s84
	s_add_u32 s84, s0, s6
	s_addc_u32 s23, s1, s7
	s_mul_i32 s0, s29, s10
	s_mul_hi_u32 s1, s28, s10
	s_add_i32 s1, s1, s0
	s_lshl_b64 s[6:7], s[64:65], 14
	s_mul_i32 s0, s95, s44
	s_mul_i32 s2, s94, s45
	s_add_u32 s0, s0, s2
	s_mul_hi_u32 s2, s95, s44
	s_mul_hi_u32 s24, s94, s45
	s_addc_u32 s2, s2, s24
	s_mul_i32 s24, vcc_lo, s31
	s_add_u32 s0, s0, s24
	s_mul_hi_u32 s24, vcc_lo, s31
	s_addc_u32 s2, s2, s24
	s_mul_i32 s24, vcc_hi, s30
	s_add_u32 s0, s0, s24
	s_mul_hi_u32 s24, vcc_hi, s30
	s_addc_u32 s2, s2, s24
	s_mul_i32 s24, s16, s38
	s_add_u32 s0, s0, s24
	s_mul_hi_u32 s24, s16, s38
	s_addc_u32 s2, s2, s24
	s_mul_i32 s24, s17, s39
	s_add_u32 s0, s0, s24
	s_mul_hi_u32 s24, s17, s39
	;; [unrolled: 4-line block ×3, first 2 shown]
	s_addc_u32 s2, s2, s24
	s_mul_i32 s24, s28, s10
	s_add_u32 s0, s0, s24
	s_addc_u32 s1, s2, s1
	s_mul_i32 s2, s11, s36
	s_add_u32 s0, s0, s2
	s_mul_hi_u32 s2, s11, s36
	s_addc_u32 s1, s1, s2
	s_mul_i32 s2, s93, s46
	s_add_u32 s64, s0, s2
	s_mul_hi_u32 s0, s93, s46
	s_addc_u32 s65, s1, s0
	s_mul_i32 s0, s29, s11
	s_mul_hi_u32 s1, s28, s11
	s_add_i32 s1, s1, s0
	s_and_b32 s2, s64, 0x3ffffff
	s_lshr_b64 s[64:65], s[64:65], 26
	s_mul_i32 s0, s95, s45
	s_mul_i32 s24, s94, s46
	s_add_u32 s0, s0, s24
	s_mul_hi_u32 s24, s95, s45
	s_mul_hi_u32 s26, s94, s46
	s_addc_u32 s24, s24, s26
	s_mul_i32 s26, vcc_lo, s44
	s_add_u32 s0, s0, s26
	s_mul_hi_u32 s26, vcc_lo, s44
	s_addc_u32 s24, s24, s26
	s_mul_i32 s26, vcc_hi, s31
	s_add_u32 s0, s0, s26
	s_mul_hi_u32 s26, vcc_hi, s31
	s_addc_u32 s24, s24, s26
	s_mul_i32 s26, s16, s30
	s_add_u32 s0, s0, s26
	s_mul_hi_u32 s26, s16, s30
	s_addc_u32 s24, s24, s26
	s_mul_i32 s26, s17, s38
	s_add_u32 s0, s0, s26
	s_mul_hi_u32 s26, s17, s38
	;; [unrolled: 4-line block ×3, first 2 shown]
	s_addc_u32 s24, s24, s26
	s_mul_i32 s26, s28, s11
	s_add_u32 s0, s0, s26
	s_addc_u32 s1, s24, s1
	s_mul_i32 s24, s93, s36
	s_add_u32 s0, s0, s24
	s_mul_hi_u32 s24, s93, s36
	s_addc_u32 s1, s1, s24
	s_add_u32 s64, s0, s64
	s_addc_u32 s65, s1, s65
	s_and_b32 s24, s64, 0x3ffffff
	s_lshr_b64 s[64:65], s[64:65], 26
	s_mul_i32 s0, s10, s40
	s_mul_i32 s1, s24, 0x3d10
	s_add_u32 s66, s1, s0
	s_mul_hi_u32 s0, s10, s40
	s_mul_hi_u32 s1, s24, 0x3d10
	s_addc_u32 s67, s1, s0
	s_mul_i32 s0, s29, s93
	s_mul_hi_u32 s1, s28, s93
	s_add_i32 s1, s1, s0
	s_and_b32 s86, s66, 0x3ffffff
	s_lshr_b64 s[66:67], s[66:67], 26
	s_mul_i32 s0, s95, s46
	s_mul_i32 s26, s94, s36
	s_mov_b32 s41, s88
	s_lshl_b64 s[88:89], s[24:25], 10
	s_add_u32 s0, s0, s26
	s_mul_hi_u32 s24, s95, s46
	s_mul_hi_u32 s26, s94, s36
	s_addc_u32 s24, s24, s26
	s_mul_i32 s26, vcc_lo, s45
	s_add_u32 s0, s0, s26
	s_mul_hi_u32 s26, vcc_lo, s45
	s_addc_u32 s24, s24, s26
	s_mul_i32 s26, vcc_hi, s44
	s_add_u32 s0, s0, s26
	s_mul_hi_u32 s26, vcc_hi, s44
	s_addc_u32 s24, s24, s26
	s_mul_i32 s26, s16, s31
	s_add_u32 s0, s0, s26
	s_mul_hi_u32 s26, s16, s31
	s_addc_u32 s24, s24, s26
	s_mul_i32 s26, s17, s30
	s_add_u32 s0, s0, s26
	s_mul_hi_u32 s26, s17, s30
	;; [unrolled: 4-line block ×3, first 2 shown]
	s_addc_u32 s24, s24, s26
	s_mul_i32 s26, s28, s93
	s_add_u32 s0, s0, s26
	s_addc_u32 s1, s24, s1
	s_add_u32 s64, s0, s64
	s_addc_u32 s65, s1, s65
	s_and_b32 s24, s64, 0x3ffffff
	s_lshr_b64 s[64:65], s[64:65], 26
	s_mul_i32 s0, s11, s40
	s_mul_i32 s1, s10, s39
	s_add_u32 s0, s0, s1
	s_mul_hi_u32 s1, s11, s40
	s_mul_hi_u32 s26, s10, s39
	s_addc_u32 s1, s1, s26
	s_add_u32 s0, s0, s88
	s_addc_u32 s1, s1, s89
	s_add_u32 s0, s0, s66
	s_addc_u32 s1, s1, s67
	s_mul_i32 s26, s24, 0x3d10
	s_add_u32 s66, s0, s26
	s_mul_hi_u32 s0, s24, 0x3d10
	s_addc_u32 s67, s1, s0
	s_mul_i32 s0, s29, s94
	s_mul_hi_u32 s1, s28, s94
	s_add_i32 s1, s1, s0
	s_and_b32 s88, s66, 0x3ffffff
	s_lshr_b64 s[66:67], s[66:67], 26
	s_mul_i32 s0, s95, s36
	s_mul_i32 s63, s28, s94
	s_lshl_b64 s[26:27], s[24:25], 10
	s_add_u32 s0, s0, s63
	s_mul_hi_u32 s24, s95, s36
	s_addc_u32 s1, s24, s1
	s_mul_i32 s24, vcc_lo, s46
	s_add_u32 s0, s0, s24
	s_mul_hi_u32 s24, vcc_lo, s46
	s_addc_u32 s1, s1, s24
	s_mul_i32 s24, vcc_hi, s45
	s_add_u32 s0, s0, s24
	s_mul_hi_u32 s24, vcc_hi, s45
	s_addc_u32 s1, s1, s24
	s_mul_i32 s24, s16, s44
	s_add_u32 s0, s0, s24
	s_mul_hi_u32 s24, s16, s44
	s_addc_u32 s1, s1, s24
	s_mul_i32 s24, s17, s31
	s_add_u32 s0, s0, s24
	s_mul_hi_u32 s24, s17, s31
	;; [unrolled: 4-line block ×3, first 2 shown]
	s_addc_u32 s1, s1, s24
	s_add_u32 s64, s0, s64
	s_addc_u32 s65, s1, s65
	s_and_b32 s24, s64, 0x3ffffff
	s_lshr_b64 s[64:65], s[64:65], 26
	s_mul_i32 s0, s11, s39
	s_mul_i32 s1, s10, s38
	s_add_u32 s0, s0, s1
	s_mul_hi_u32 s1, s11, s39
	s_mul_hi_u32 s63, s10, s38
	s_addc_u32 s1, s1, s63
	s_mul_i32 s63, s93, s40
	s_add_u32 s0, s0, s63
	s_mul_hi_u32 s63, s93, s40
	s_addc_u32 s1, s1, s63
	s_add_u32 s0, s0, s26
	s_addc_u32 s1, s1, s27
	s_mul_i32 s26, s24, 0x3d10
	s_add_u32 s0, s0, s26
	s_mul_hi_u32 s26, s24, 0x3d10
	s_addc_u32 s1, s1, s26
	s_add_u32 s26, s0, s66
	s_addc_u32 s27, s1, s67
	s_mul_i32 s0, s29, s95
	s_mul_hi_u32 s1, s28, s95
	s_add_i32 s1, s1, s0
	s_and_b32 s89, s26, 0x3ffffff
	s_lshr_b64 s[26:27], s[26:27], 26
	s_mul_i32 s0, vcc_lo, s36
	s_mul_i32 s63, s28, s95
	s_lshl_b64 s[66:67], s[24:25], 10
	s_add_u32 s0, s0, s63
	s_mul_hi_u32 s24, vcc_lo, s36
	s_addc_u32 s1, s24, s1
	s_mul_i32 s24, vcc_hi, s46
	s_add_u32 s0, s0, s24
	s_mul_hi_u32 s24, vcc_hi, s46
	s_addc_u32 s1, s1, s24
	s_mul_i32 s24, s16, s45
	s_add_u32 s0, s0, s24
	s_mul_hi_u32 s24, s16, s45
	s_addc_u32 s1, s1, s24
	s_mul_i32 s24, s17, s44
	s_add_u32 s0, s0, s24
	s_mul_hi_u32 s24, s17, s44
	;; [unrolled: 4-line block ×3, first 2 shown]
	s_addc_u32 s1, s1, s24
	s_add_u32 s64, s0, s64
	s_addc_u32 s65, s1, s65
	s_and_b32 s24, s64, 0x3ffffff
	s_lshr_b64 s[64:65], s[64:65], 26
	s_mul_i32 s0, s94, s40
	s_mul_i32 s1, s10, s30
	s_add_u32 s0, s1, s0
	s_mul_hi_u32 s1, s94, s40
	s_mul_hi_u32 s63, s10, s30
	s_addc_u32 s1, s63, s1
	s_mul_i32 s63, s11, s38
	s_add_u32 s0, s0, s63
	s_mul_hi_u32 s63, s11, s38
	s_addc_u32 s1, s1, s63
	s_mul_i32 s63, s93, s39
	s_add_u32 s0, s0, s63
	s_mul_hi_u32 s63, s93, s39
	s_addc_u32 s1, s1, s63
	s_add_u32 s0, s0, s66
	s_addc_u32 s1, s1, s67
	s_mul_i32 s63, s24, 0x3d10
	s_add_u32 s0, s0, s63
	s_mul_hi_u32 s63, s24, 0x3d10
	s_addc_u32 s1, s1, s63
	s_add_u32 s26, s0, s26
	s_addc_u32 s27, s1, s27
	s_mul_i32 s0, s29, vcc_lo
	s_mul_hi_u32 s1, s28, vcc_lo
	s_add_i32 s1, s1, s0
	s_and_b32 s67, s26, 0x3ffffff
	s_lshr_b64 s[26:27], s[26:27], 26
	s_mul_i32 s0, vcc_hi, s36
	s_mul_i32 s63, s28, vcc_lo
	s_lshl_b64 s[90:91], s[24:25], 10
	s_add_u32 s0, s0, s63
	s_mul_hi_u32 s24, vcc_hi, s36
	s_addc_u32 s1, s24, s1
	s_mul_i32 s24, s16, s46
	s_add_u32 s0, s0, s24
	s_mul_hi_u32 s24, s16, s46
	s_addc_u32 s1, s1, s24
	s_mul_i32 s24, s17, s45
	s_add_u32 s0, s0, s24
	s_mul_hi_u32 s24, s17, s45
	;; [unrolled: 4-line block ×3, first 2 shown]
	s_addc_u32 s1, s1, s24
	s_add_u32 s64, s0, s64
	s_addc_u32 s65, s1, s65
	s_and_b32 s24, s64, 0x3ffffff
	s_lshr_b64 s[0:1], s[64:65], 26
	s_mul_i32 s63, s95, s40
	s_mul_i32 s64, s94, s39
	s_add_u32 s63, s63, s64
	s_mul_hi_u32 s64, s95, s40
	s_mul_hi_u32 s65, s94, s39
	s_addc_u32 s64, s64, s65
	s_mul_i32 s65, s10, s31
	s_add_u32 s63, s63, s65
	s_mul_hi_u32 s65, s10, s31
	s_addc_u32 s64, s64, s65
	s_mul_i32 s65, s11, s30
	s_add_u32 s63, s63, s65
	;; [unrolled: 4-line block ×3, first 2 shown]
	s_mul_hi_u32 s65, s93, s38
	s_addc_u32 s64, s64, s65
	s_add_u32 s63, s63, s90
	s_addc_u32 s64, s64, s91
	s_mul_i32 s65, s24, 0x3d10
	s_add_u32 s63, s63, s65
	s_mul_hi_u32 s65, s24, 0x3d10
	s_addc_u32 s64, s64, s65
	s_add_u32 s26, s63, s26
	s_addc_u32 s27, s64, s27
	s_mul_i32 s63, s29, vcc_hi
	s_mul_hi_u32 s64, s28, vcc_hi
	s_add_i32 s64, s64, s63
	s_and_b32 s65, s26, 0x3ffffff
	s_lshr_b64 s[26:27], s[26:27], 26
	s_mul_i32 s63, s16, s36
	s_mul_i32 s66, s28, vcc_hi
	s_lshl_b64 s[90:91], s[24:25], 10
	s_add_u32 s24, s63, s66
	s_mul_hi_u32 s63, s16, s36
	s_addc_u32 s63, s63, s64
	s_mul_i32 s64, s17, s46
	s_add_u32 s24, s24, s64
	s_mul_hi_u32 s64, s17, s46
	s_addc_u32 s63, s63, s64
	s_mul_i32 s64, s18, s45
	s_add_u32 s24, s24, s64
	s_mul_hi_u32 s64, s18, s45
	s_addc_u32 s63, s63, s64
	s_add_u32 s0, s24, s0
	s_addc_u32 s1, s63, s1
	s_and_b32 s24, s0, 0x3ffffff
	s_lshr_b64 s[0:1], s[0:1], 26
	s_mul_i32 s63, s95, s39
	s_mul_i32 s64, s94, s38
	s_add_u32 s63, s63, s64
	s_mul_hi_u32 s64, s95, s39
	s_mul_hi_u32 s66, s94, s38
	s_addc_u32 s64, s64, s66
	s_mul_i32 s66, vcc_lo, s40
	s_add_u32 s63, s63, s66
	s_mul_hi_u32 s66, vcc_lo, s40
	s_addc_u32 s64, s64, s66
	s_mul_i32 s66, s10, s44
	s_add_u32 s63, s63, s66
	s_mul_hi_u32 s66, s10, s44
	s_addc_u32 s64, s64, s66
	s_mul_i32 s66, s11, s31
	s_add_u32 s63, s63, s66
	s_mul_hi_u32 s66, s11, s31
	;; [unrolled: 4-line block ×3, first 2 shown]
	s_addc_u32 s64, s64, s66
	s_add_u32 s63, s63, s90
	s_addc_u32 s64, s64, s91
	s_mul_i32 s66, s24, 0x3d10
	s_add_u32 s63, s63, s66
	s_mul_hi_u32 s66, s24, 0x3d10
	s_addc_u32 s64, s64, s66
	s_add_u32 s26, s63, s26
	s_addc_u32 s27, s64, s27
	s_mul_i32 s63, s29, s16
	s_mul_hi_u32 s64, s28, s16
	s_add_i32 s64, s64, s63
	s_and_b32 s63, s26, 0x3ffffff
	s_lshr_b64 s[26:27], s[26:27], 26
	s_mul_i32 s66, s17, s36
	s_mul_i32 s37, s28, s16
	s_lshl_b64 s[90:91], s[24:25], 10
	s_add_u32 s24, s66, s37
	s_mul_hi_u32 s37, s17, s36
	s_addc_u32 s37, s37, s64
	s_mul_i32 s64, s18, s46
	s_add_u32 s24, s24, s64
	s_mul_hi_u32 s64, s18, s46
	s_addc_u32 s37, s37, s64
	s_add_u32 s0, s24, s0
	s_addc_u32 s1, s37, s1
	s_and_b32 s24, s0, 0x3ffffff
	s_lshr_b64 s[0:1], s[0:1], 26
	s_mul_i32 s37, s95, s38
	s_mul_i32 s64, s94, s30
	s_add_u32 s37, s37, s64
	s_mul_hi_u32 s64, s95, s38
	s_mul_hi_u32 s66, s94, s30
	s_addc_u32 s64, s64, s66
	s_mul_i32 s66, vcc_lo, s39
	s_add_u32 s37, s37, s66
	s_mul_hi_u32 s66, vcc_lo, s39
	s_addc_u32 s64, s64, s66
	s_mul_i32 s66, vcc_hi, s40
	s_add_u32 s37, s37, s66
	s_mul_hi_u32 s66, vcc_hi, s40
	s_addc_u32 s64, s64, s66
	s_mul_i32 s66, s10, s45
	s_add_u32 s37, s37, s66
	s_mul_hi_u32 s66, s10, s45
	s_addc_u32 s64, s64, s66
	s_mul_i32 s66, s11, s44
	s_add_u32 s37, s37, s66
	s_mul_hi_u32 s66, s11, s44
	;; [unrolled: 4-line block ×3, first 2 shown]
	s_addc_u32 s64, s64, s66
	s_add_u32 s37, s37, s90
	s_addc_u32 s64, s64, s91
	s_mul_i32 s66, s24, 0x3d10
	s_add_u32 s37, s37, s66
	s_mul_hi_u32 s66, s24, 0x3d10
	s_addc_u32 s64, s64, s66
	s_add_u32 s26, s37, s26
	s_addc_u32 s27, s64, s27
	s_mul_i32 s37, s29, s17
	s_mul_hi_u32 s64, s28, s17
	s_add_i32 s37, s64, s37
	s_and_b32 s64, s26, 0x3ffffff
	s_lshr_b64 s[26:27], s[26:27], 26
	s_mul_i32 s66, s18, s36
	s_mul_i32 s92, s28, s17
	s_lshl_b64 s[90:91], s[24:25], 10
	s_add_u32 s24, s66, s92
	s_mul_hi_u32 s66, s18, s36
	s_addc_u32 s37, s66, s37
	s_add_u32 s0, s24, s0
	s_addc_u32 s1, s37, s1
	s_and_b32 s24, s0, 0x3ffffff
	s_lshr_b64 s[0:1], s[0:1], 26
	s_mul_i32 s37, s95, s30
	s_mul_i32 s66, s94, s31
	s_add_u32 s37, s37, s66
	s_mul_hi_u32 s66, s95, s30
	s_mul_hi_u32 s92, s94, s31
	s_addc_u32 s66, s66, s92
	s_mul_i32 s92, vcc_lo, s38
	s_add_u32 s37, s37, s92
	s_mul_hi_u32 s92, vcc_lo, s38
	s_addc_u32 s66, s66, s92
	s_mul_i32 s92, vcc_hi, s39
	s_add_u32 s37, s37, s92
	s_mul_hi_u32 s92, vcc_hi, s39
	s_addc_u32 s66, s66, s92
	s_mul_i32 s92, s16, s40
	s_add_u32 s37, s37, s92
	s_mul_hi_u32 s92, s16, s40
	s_addc_u32 s66, s66, s92
	s_mul_i32 s92, s10, s46
	s_add_u32 s37, s37, s92
	s_mul_hi_u32 s92, s10, s46
	;; [unrolled: 4-line block ×4, first 2 shown]
	s_addc_u32 s66, s66, s92
	s_add_u32 s37, s37, s90
	s_addc_u32 s66, s66, s91
	s_mul_i32 s90, s24, 0x3d10
	s_add_u32 s37, s37, s90
	s_mul_hi_u32 s90, s24, 0x3d10
	s_addc_u32 s66, s66, s90
	s_add_u32 s26, s37, s26
	s_addc_u32 s27, s66, s27
	s_mul_i32 s29, s29, s18
	s_mul_hi_u32 s37, s28, s18
	s_mul_i32 s18, s28, s18
	s_add_i32 s37, s37, s29
	s_and_b32 s66, s26, 0x3ffffff
	s_lshr_b64 s[26:27], s[26:27], 26
	s_lshl_b64 s[28:29], s[24:25], 10
	s_add_u32 s0, s0, s18
	s_addc_u32 s1, s1, s37
	s_mul_hi_u32 s18, s17, s40
	s_mul_i32 s17, s17, s40
	s_mul_hi_u32 s37, s16, s39
	s_mul_i32 s16, s16, s39
	s_mul_hi_u32 s39, vcc_hi, s38
	s_mul_i32 vcc_hi, vcc_hi, s38
	s_mul_hi_u32 s38, vcc_lo, s30
	s_mul_i32 vcc_lo, vcc_lo, s30
	s_mul_hi_u32 s30, s95, s31
	s_mul_i32 s95, s95, s31
	s_mul_hi_u32 s31, s94, s44
	s_mul_i32 s94, s94, s44
	;; [unrolled: 2-line block ×5, first 2 shown]
	s_and_b32 s24, s0, 0x3ffffff
	s_lshr_b64 s[10:11], s[0:1], 26
	s_add_u32 s90, s95, s94
	s_addc_u32 s30, s30, s31
	s_add_u32 s31, s90, vcc_lo
	s_addc_u32 s30, s30, s38
	s_add_u32 s31, s31, vcc_hi
	s_addc_u32 s30, s30, s39
	s_add_u32 s16, s31, s16
	s_addc_u32 s30, s30, s37
	s_add_u32 s16, s16, s17
	s_addc_u32 s17, s30, s18
	s_add_u32 s16, s16, s36
	s_addc_u32 s17, s17, s46
	s_add_u32 s16, s16, s45
	s_addc_u32 s17, s17, s44
	s_add_u32 s16, s16, s93
	s_addc_u32 s17, s17, s40
	s_add_u32 s16, s16, s28
	s_addc_u32 s17, s17, s29
	s_mul_i32 s18, s24, 0x3d10
	s_add_u32 s16, s16, s18
	s_mul_hi_u32 s18, s24, 0x3d10
	s_addc_u32 s17, s17, s18
	v_mov_b32_e32 v0, s0
	s_add_u32 s16, s16, s26
	v_alignbit_b32 v0, s1, v0, 26
	s_addc_u32 s17, s17, s27
	s_lshr_b32 s0, s1, 26
	v_readfirstlane_b32 s1, v0
	s_mulk_i32 s0, 0x3d10
	s_mul_hi_u32 s18, s1, 0x3d10
	s_add_i32 s18, s18, s0
	s_mul_i32 s26, s1, 0x3d10
	s_and_b32 s36, s16, 0x3ffffff
	s_lshr_b64 s[0:1], s[16:17], 26
	s_lshl_b64 s[16:17], s[24:25], 10
	s_add_u32 s2, s26, s2
	s_addc_u32 s18, s18, 0
	s_add_u32 s2, s2, s16
	s_addc_u32 s16, s18, s17
	;; [unrolled: 2-line block ×3, first 2 shown]
	s_and_b32 s24, s0, 0x3fffff
	s_lshl_b64 s[10:11], s[10:11], 14
	s_lshr_b64 s[0:1], s[0:1], 22
	s_add_u32 s0, s0, s10
	s_addc_u32 s1, s1, s11
	s_mul_hi_u32 s2, s0, 0x3d1
	s_mul_i32 s10, s1, 0x3d1
	s_add_i32 s2, s2, s10
	s_mul_i32 s10, s0, 0x3d1
	s_add_u32 s10, s10, s86
	s_addc_u32 s11, s2, 0
	s_lshl_b64 s[0:1], s[0:1], 6
	s_and_b32 s40, s10, 0x3ffffff
	s_lshr_b64 s[10:11], s[10:11], 26
	s_add_u32 s0, s0, s88
	s_addc_u32 s1, s1, 0
	s_add_u32 s0, s0, s10
	s_addc_u32 s1, s1, s11
	v_mov_b32_e32 v0, s0
	v_alignbit_b32 v0, s1, v0, 26
	s_mul_hi_u32 s2, s83, s48
	s_mul_i32 s10, s56, s48
	v_readfirstlane_b32 s1, v0
	s_add_i32 s2, s2, s10
	s_add_i32 s38, s1, s89
	s_and_b32 s39, s0, 0x3ffffff
	s_mul_i32 s0, s19, s9
	s_mul_i32 s1, s57, s53
	s_add_u32 s0, s1, s0
	s_mul_hi_u32 s1, s19, s9
	s_mul_hi_u32 s10, s57, s53
	s_addc_u32 s1, s10, s1
	s_mul_i32 s10, s58, s52
	s_add_u32 s0, s0, s10
	s_mul_hi_u32 s10, s58, s52
	s_addc_u32 s1, s1, s10
	s_mul_i32 s10, s59, s51
	s_add_u32 s0, s0, s10
	;; [unrolled: 4-line block ×8, first 2 shown]
	s_addc_u32 s11, s1, s2
	s_mul_hi_u32 s0, s83, s50
	s_mul_i32 s1, s56, s50
	s_add_i32 s1, s0, s1
	s_and_b32 s0, s10, 0x3ffffff
	s_lshr_b64 s[10:11], s[10:11], 26
	s_mul_i32 s2, s19, s48
	s_mul_i32 s16, s57, s9
	s_add_u32 s2, s16, s2
	s_mul_hi_u32 s16, s19, s48
	s_mul_hi_u32 s17, s57, s9
	s_addc_u32 s16, s17, s16
	s_mul_i32 s17, s58, s53
	s_add_u32 s2, s2, s17
	s_mul_hi_u32 s17, s58, s53
	s_addc_u32 s16, s16, s17
	s_mul_i32 s17, s59, s52
	s_add_u32 s2, s2, s17
	;; [unrolled: 4-line block ×7, first 2 shown]
	s_addc_u32 s1, s16, s1
	s_add_u32 s10, s2, s10
	s_addc_u32 s11, s1, s11
	s_and_b32 s16, s10, 0x3ffffff
	s_lshr_b64 s[10:11], s[10:11], 26
	s_mul_i32 s1, s79, s8
	s_mul_i32 s2, s16, 0x3d10
	s_add_u32 s26, s2, s1
	s_mul_hi_u32 s1, s79, s8
	s_mul_hi_u32 s2, s16, 0x3d10
	s_addc_u32 s27, s2, s1
	s_mul_hi_u32 s1, s83, s54
	s_mul_i32 s2, s56, s54
	s_mov_b32 s17, s25
	s_add_i32 s1, s1, s2
	s_lshl_b64 s[28:29], s[16:17], 10
	s_and_b32 s16, s26, 0x3ffffff
	s_lshr_b64 s[26:27], s[26:27], 26
	s_mul_i32 s2, s19, s50
	s_mul_i32 s17, s57, s48
	s_add_u32 s2, s17, s2
	s_mul_hi_u32 s17, s19, s50
	s_mul_hi_u32 s18, s57, s48
	s_addc_u32 s17, s18, s17
	s_mul_i32 s18, s58, s9
	s_add_u32 s2, s2, s18
	s_mul_hi_u32 s18, s58, s9
	s_addc_u32 s17, s17, s18
	s_mul_i32 s18, s59, s53
	s_add_u32 s2, s2, s18
	;; [unrolled: 4-line block ×6, first 2 shown]
	s_addc_u32 s1, s17, s1
	s_add_u32 s10, s2, s10
	s_addc_u32 s11, s1, s11
	s_and_b32 s30, s10, 0x3ffffff
	s_lshr_b64 s[10:11], s[10:11], 26
	s_mul_i32 s1, s79, s47
	s_mul_i32 s2, s81, s8
	s_add_u32 s1, s2, s1
	s_mul_hi_u32 s2, s79, s47
	s_mul_hi_u32 s17, s81, s8
	s_addc_u32 s2, s17, s2
	s_add_u32 s1, s1, s28
	s_addc_u32 s2, s2, s29
	s_add_u32 s1, s1, s26
	s_addc_u32 s2, s2, s27
	s_mul_i32 s17, s30, 0x3d10
	s_add_u32 s26, s1, s17
	s_mul_hi_u32 s1, s30, 0x3d10
	s_addc_u32 s27, s2, s1
	s_mul_hi_u32 s1, s83, s8
	s_mul_i32 s2, s56, s8
	s_mov_b32 s31, s25
	s_add_i32 s1, s1, s2
	s_lshl_b64 s[28:29], s[30:31], 10
	s_and_b32 s17, s26, 0x3ffffff
	s_lshr_b64 s[26:27], s[26:27], 26
	s_mul_i32 s2, s19, s54
	s_mul_i32 s18, s57, s50
	s_add_u32 s2, s18, s2
	s_mul_hi_u32 s18, s19, s54
	s_mul_hi_u32 s30, s57, s50
	s_addc_u32 s18, s30, s18
	s_mul_i32 s30, s58, s48
	s_add_u32 s2, s2, s30
	s_mul_hi_u32 s30, s58, s48
	s_addc_u32 s18, s18, s30
	s_mul_i32 s30, s59, s9
	s_add_u32 s2, s2, s30
	;; [unrolled: 4-line block ×5, first 2 shown]
	s_mul_hi_u32 s30, s82, s51
	s_addc_u32 s18, s18, s30
	s_add_u32 s10, s2, s10
	s_addc_u32 s11, s18, s11
	s_and_b32 s30, s10, 0x3ffffff
	s_lshr_b64 s[44:45], s[10:11], 26
	s_mul_i32 s2, s79, s49
	s_mul_i32 s10, s81, s47
	s_add_u32 s2, s10, s2
	s_mul_hi_u32 s10, s79, s49
	s_mul_hi_u32 s11, s81, s47
	s_addc_u32 s10, s11, s10
	s_mul_i32 s11, s83, s8
	s_add_u32 s2, s2, s11
	s_addc_u32 s1, s10, s1
	s_add_u32 s2, s2, s28
	s_addc_u32 s1, s1, s29
	s_mul_i32 s10, s30, 0x3d10
	s_add_u32 s2, s2, s10
	s_mul_hi_u32 s10, s30, 0x3d10
	s_addc_u32 s1, s1, s10
	s_add_u32 s10, s2, s26
	s_addc_u32 s11, s1, s27
	s_mul_hi_u32 s1, s83, s47
	s_mul_i32 s2, s56, s47
	s_add_i32 s1, s1, s2
	s_lshl_b64 s[26:27], s[30:31], 10
	s_and_b32 s18, s10, 0x3ffffff
	s_lshr_b64 s[10:11], s[10:11], 26
	s_mul_i32 s2, s57, s54
	s_mul_i32 s28, s58, s50
	s_add_u32 s2, s28, s2
	s_mul_hi_u32 s28, s57, s54
	s_mul_hi_u32 s29, s58, s50
	s_addc_u32 s28, s29, s28
	s_mul_i32 s29, s59, s48
	s_add_u32 s2, s2, s29
	s_mul_hi_u32 s29, s59, s48
	s_addc_u32 s28, s28, s29
	s_mul_i32 s29, s60, s9
	s_add_u32 s2, s2, s29
	;; [unrolled: 4-line block ×4, first 2 shown]
	s_mul_hi_u32 s29, s82, s52
	s_addc_u32 s29, s28, s29
	s_add_u32 s28, s2, s44
	s_addc_u32 s29, s29, s45
	s_and_b32 s44, s28, 0x3ffffff
	s_lshr_b64 s[28:29], s[28:29], 26
	s_mul_i32 s2, s19, s8
	s_mul_i32 s30, s79, s51
	s_add_u32 s2, s30, s2
	s_mul_hi_u32 s30, s19, s8
	s_mul_hi_u32 s31, s79, s51
	s_addc_u32 s30, s31, s30
	s_mul_i32 s31, s81, s49
	s_add_u32 s2, s2, s31
	s_mul_hi_u32 s31, s81, s49
	s_addc_u32 s30, s30, s31
	s_mul_i32 s31, s83, s47
	s_add_u32 s2, s2, s31
	s_addc_u32 s1, s30, s1
	s_add_u32 s2, s2, s26
	s_addc_u32 s1, s1, s27
	s_mul_i32 s26, s44, 0x3d10
	s_add_u32 s30, s2, s26
	s_mul_hi_u32 s2, s44, 0x3d10
	s_addc_u32 s31, s1, s2
	s_mul_hi_u32 s1, s83, s49
	s_mul_i32 s2, s56, s49
	s_mov_b32 s45, s25
	s_add_i32 s1, s1, s2
	s_lshl_b64 s[26:27], s[44:45], 10
	s_mul_i32 s2, s58, s54
	s_mul_i32 s37, s59, s50
	s_add_u32 s2, s37, s2
	s_mul_hi_u32 s37, s58, s54
	s_mul_hi_u32 s44, s59, s50
	s_addc_u32 s37, s44, s37
	s_mul_i32 s44, s60, s48
	s_add_u32 s2, s2, s44
	s_mul_hi_u32 s44, s60, s48
	s_addc_u32 s37, s37, s44
	s_mul_i32 s44, s33, s9
	s_add_u32 s2, s2, s44
	;; [unrolled: 4-line block ×3, first 2 shown]
	s_mul_hi_u32 s44, s82, s53
	s_addc_u32 s37, s37, s44
	s_add_u32 s28, s2, s28
	s_addc_u32 s29, s37, s29
	s_and_b32 s88, s28, 0x3ffffff
	s_lshr_b64 s[28:29], s[28:29], 26
	s_mul_i32 s2, s19, s47
	s_mul_i32 s37, s57, s8
	s_add_u32 s2, s37, s2
	s_mul_hi_u32 s37, s19, s47
	s_mul_hi_u32 s44, s57, s8
	s_addc_u32 s37, s44, s37
	s_mul_i32 s44, s79, s52
	s_add_u32 s2, s2, s44
	s_mul_hi_u32 s44, s79, s52
	s_addc_u32 s37, s37, s44
	s_mul_i32 s44, s81, s51
	s_add_u32 s2, s2, s44
	;; [unrolled: 4-line block ×3, first 2 shown]
	s_addc_u32 s1, s37, s1
	s_add_u32 s2, s2, s26
	s_addc_u32 s1, s1, s27
	s_mul_i32 s26, s88, 0x3d10
	s_add_u32 s44, s2, s26
	s_mul_hi_u32 s2, s88, 0x3d10
	s_addc_u32 s45, s1, s2
	s_mul_hi_u32 s1, s83, s51
	s_mul_i32 s2, s56, s51
	s_mov_b32 s89, s25
	s_add_i32 s1, s1, s2
	s_lshl_b64 s[26:27], s[88:89], 10
	s_mul_i32 s2, s59, s54
	s_mul_i32 s37, s60, s50
	s_add_u32 s2, s37, s2
	s_mul_hi_u32 s37, s59, s54
	s_mul_hi_u32 s46, s60, s50
	s_addc_u32 s37, s46, s37
	s_mul_i32 s46, s33, s48
	s_add_u32 s2, s2, s46
	s_mul_hi_u32 s46, s33, s48
	s_addc_u32 s37, s37, s46
	s_mul_i32 s46, s82, s9
	s_add_u32 s2, s2, s46
	s_mul_hi_u32 s46, s82, s9
	s_addc_u32 s37, s37, s46
	s_add_u32 s28, s2, s28
	s_addc_u32 s29, s37, s29
	s_and_b32 s90, s28, 0x3ffffff
	s_lshr_b64 s[28:29], s[28:29], 26
	s_mul_i32 s2, s19, s49
	s_mul_i32 s37, s57, s47
	s_add_u32 s2, s37, s2
	s_mul_hi_u32 s37, s19, s49
	s_mul_hi_u32 s46, s57, s47
	s_addc_u32 s37, s46, s37
	s_mul_i32 s46, s58, s8
	s_add_u32 s2, s2, s46
	s_mul_hi_u32 s46, s58, s8
	s_addc_u32 s37, s37, s46
	s_mul_i32 s46, s79, s53
	s_add_u32 s2, s2, s46
	;; [unrolled: 4-line block ×4, first 2 shown]
	s_addc_u32 s1, s37, s1
	s_add_u32 s2, s2, s26
	s_addc_u32 s1, s1, s27
	s_mul_i32 s26, s90, 0x3d10
	s_add_u32 s46, s2, s26
	s_mul_hi_u32 s2, s90, 0x3d10
	s_addc_u32 s89, s1, s2
	s_mul_hi_u32 s1, s83, s52
	s_mul_i32 s2, s56, s52
	s_mov_b32 s91, s25
	s_add_i32 s1, s1, s2
	s_lshl_b64 s[26:27], s[90:91], 10
	s_mul_i32 s2, s60, s54
	s_mul_i32 s37, s33, s50
	s_add_u32 s2, s37, s2
	s_mul_hi_u32 s37, s60, s54
	s_mul_hi_u32 s86, s33, s50
	s_addc_u32 s37, s86, s37
	s_mul_i32 s86, s82, s48
	s_add_u32 s2, s2, s86
	s_mul_hi_u32 s86, s82, s48
	s_addc_u32 s37, s37, s86
	s_add_u32 s28, s2, s28
	s_addc_u32 s29, s37, s29
	s_and_b32 s90, s28, 0x3ffffff
	s_lshr_b64 s[28:29], s[28:29], 26
	s_mul_i32 s2, s19, s51
	s_mul_i32 s37, s57, s49
	s_add_u32 s2, s37, s2
	s_mul_hi_u32 s37, s19, s51
	s_mul_hi_u32 s86, s57, s49
	s_addc_u32 s37, s86, s37
	s_mul_i32 s86, s58, s47
	s_add_u32 s2, s2, s86
	s_mul_hi_u32 s86, s58, s47
	s_addc_u32 s37, s37, s86
	s_mul_i32 s86, s59, s8
	s_add_u32 s2, s2, s86
	;; [unrolled: 4-line block ×5, first 2 shown]
	s_addc_u32 s1, s37, s1
	s_add_u32 s2, s2, s26
	s_addc_u32 s1, s1, s27
	s_mul_i32 s26, s90, 0x3d10
	s_add_u32 s86, s2, s26
	s_mul_hi_u32 s2, s90, 0x3d10
	s_addc_u32 s88, s1, s2
	s_mul_hi_u32 s1, s83, s53
	s_mul_i32 s2, s56, s53
	s_add_i32 s1, s1, s2
	s_lshl_b64 s[26:27], s[90:91], 10
	s_mul_i32 s2, s33, s54
	s_mul_i32 s37, s82, s50
	s_add_u32 s2, s37, s2
	s_mul_hi_u32 s37, s33, s54
	s_mul_hi_u32 s90, s82, s50
	s_addc_u32 s37, s90, s37
	s_add_u32 s28, s2, s28
	s_addc_u32 s29, s37, s29
	s_and_b32 s90, s28, 0x3ffffff
	s_lshr_b64 s[28:29], s[28:29], 26
	s_mul_i32 s2, s19, s52
	s_mul_i32 s37, s57, s51
	s_add_u32 s2, s37, s2
	s_mul_hi_u32 s37, s19, s52
	s_mul_hi_u32 s91, s57, s51
	s_addc_u32 s37, s91, s37
	s_mul_i32 s91, s58, s49
	s_add_u32 s2, s2, s91
	s_mul_hi_u32 s91, s58, s49
	s_addc_u32 s37, s37, s91
	s_mul_i32 s91, s59, s47
	s_add_u32 s2, s2, s91
	;; [unrolled: 4-line block ×6, first 2 shown]
	s_addc_u32 s1, s37, s1
	s_add_u32 s2, s2, s26
	s_addc_u32 s1, s1, s27
	s_mul_i32 s26, s90, 0x3d10
	s_mul_hi_u32 s37, s82, s54
	s_mul_i32 s54, s82, s54
	s_add_u32 s82, s2, s26
	s_mul_hi_u32 s2, s90, 0x3d10
	s_addc_u32 s93, s1, s2
	s_mul_i32 s56, s56, s9
	s_mul_hi_u32 s1, s83, s9
	s_mov_b32 s91, s25
	s_add_i32 s1, s1, s56
	s_lshl_b64 s[26:27], s[90:91], 10
	s_add_u32 s28, s28, s54
	s_addc_u32 s29, s29, s37
	v_mov_b32_e32 v0, s28
	s_mul_hi_u32 s2, s19, s53
	s_mul_i32 s19, s19, s53
	s_mul_hi_u32 s37, s57, s52
	s_mul_i32 s57, s57, s52
	;; [unrolled: 2-line block ×6, first 2 shown]
	v_alignbit_b32 v0, s29, v0, 26
	s_and_b32 s8, s28, 0x3ffffff
	s_lshr_b64 s[28:29], s[28:29], 26
	s_mul_i32 s83, s83, s9
	s_add_u32 s9, s57, s19
	s_addc_u32 s2, s37, s2
	s_add_u32 s9, s9, s58
	s_addc_u32 s2, s2, s52
	;; [unrolled: 2-line block ×4, first 2 shown]
	s_add_u32 s9, s9, s33
	s_mul_hi_u32 s53, s79, s50
	s_mul_i32 s79, s79, s50
	s_addc_u32 s2, s2, s47
	s_add_u32 s9, s9, s79
	s_mul_hi_u32 s50, s81, s48
	s_mul_i32 s81, s81, s48
	s_addc_u32 s2, s2, s53
	s_add_u32 s9, s9, s81
	s_addc_u32 s2, s2, s50
	s_add_u32 s9, s9, s83
	;; [unrolled: 2-line block ×3, first 2 shown]
	s_addc_u32 s1, s1, s27
	s_mul_i32 s9, s8, 0x3d10
	s_add_u32 s79, s2, s9
	s_mul_hi_u32 s2, s8, 0x3d10
	s_addc_u32 s81, s1, s2
	s_mov_b32 s9, s25
	v_readfirstlane_b32 s1, v0
	s_lshl_b64 s[8:9], s[8:9], 10
	s_mul_i32 s2, s1, 0x3d10
	s_add_u32 s0, s2, s0
	s_mul_hi_u32 s1, s1, 0x3d10
	s_addc_u32 s1, s1, 0
	s_add_u32 s50, s0, s8
	s_addc_u32 s51, s1, s9
	s_lshl_b64 s[8:9], s[28:29], 14
	v_readlane_b32 s0, v14, 14
	v_readlane_b32 s2, v14, 16
	;; [unrolled: 1-line block ×3, first 2 shown]
	s_add_u32 s0, s2, s0
	v_readlane_b32 s2, v14, 17
	s_addc_u32 s1, s2, s1
	s_lshr_b64 s[26:27], s[0:1], 26
	v_readlane_b32 s1, v14, 18
	s_add_u32 s26, s1, s26
	v_readlane_b32 s1, v14, 19
	s_addc_u32 s27, s1, s27
	s_and_b32 s2, s0, 0x3ffffff
	s_and_b32 s33, s26, 0x3ffffff
	s_lshr_b64 s[0:1], s[26:27], 26
	v_readlane_b32 s19, v14, 20
	s_add_u32 s0, s19, s0
	v_readlane_b32 s19, v14, 21
	s_addc_u32 s1, s19, s1
	s_and_b32 s37, s0, 0x3ffffff
	s_lshr_b64 s[26:27], s[0:1], 26
	v_readlane_b32 s0, v14, 35
	s_add_u32 s0, s0, s4
	v_readlane_b32 s1, v14, 36
	s_addc_u32 s1, s1, s5
	s_lshr_b64 s[4:5], s[0:1], 26
	s_add_u32 s4, s62, s4
	s_addc_u32 s5, s61, s5
	s_and_b32 s28, s0, 0x3ffffff
	s_and_b32 s19, s4, 0x3ffffff
	s_lshr_b64 s[0:1], s[4:5], 26
	s_add_u32 s0, s55, s0
	s_addc_u32 s1, s22, s1
	s_and_b32 s29, s0, 0x3ffffff
	s_lshr_b64 s[90:91], s[0:1], 26
	s_add_u32 s0, s30, s10
	s_addc_u32 s1, s31, s11
	s_lshr_b64 s[4:5], s[0:1], 26
	s_add_u32 s10, s44, s4
	s_addc_u32 s11, s45, s5
	s_and_b32 s5, s0, 0x3ffffff
	s_and_b32 s4, s10, 0x3ffffff
	s_lshr_b64 s[0:1], s[10:11], 26
	s_add_u32 s0, s46, s0
	s_addc_u32 s1, s89, s1
	s_lshl_b32 s11, s5, 1
	s_add_i32 s11, s11, s28
	s_sub_i32 s52, s2, s11
	s_and_b32 s11, s0, 0x3ffffff
	s_lshl_b32 s10, s4, 1
	s_lshl_b32 s2, s11, 1
	s_add_i32 s10, s10, s19
	s_add_i32 s2, s2, s29
	s_sub_i32 s10, s33, s10
	s_sub_i32 s54, s37, s2
	s_lshr_b64 s[0:1], s[0:1], 26
	s_add_i32 s48, s52, 0x1ffffff8
	s_add_i32 s47, s10, 0x1ffffff8
	;; [unrolled: 1-line block ×3, first 2 shown]
	v_readlane_b32 s2, v14, 22
	s_add_u32 s26, s2, s26
	v_readlane_b32 s2, v14, 23
	s_addc_u32 s27, s2, s27
	s_lshr_b64 s[30:31], s[26:27], 26
	v_readlane_b32 s2, v14, 24
	s_add_u32 s30, s2, s30
	v_readlane_b32 s2, v14, 25
	s_addc_u32 s31, s2, s31
	s_and_b32 s53, s26, 0x3ffffff
	s_and_b32 s57, s30, 0x3ffffff
	s_lshr_b64 s[26:27], s[30:31], 26
	v_readlane_b32 s2, v14, 26
	s_add_u32 s26, s2, s26
	v_readlane_b32 s2, v14, 27
	s_addc_u32 s27, s2, s27
	s_and_b32 s58, s26, 0x3ffffff
	s_lshr_b64 s[26:27], s[26:27], 26
	v_readlane_b32 s2, v14, 28
	s_add_u32 s26, s2, s26
	v_readlane_b32 s2, v14, 29
	s_addc_u32 s27, s2, s27
	s_and_b32 s59, s26, 0x3fffff
	s_lshr_b64 s[26:27], s[26:27], 22
	v_readlane_b32 s30, v14, 30
	v_readlane_b32 s31, v14, 31
	s_add_u32 s26, s26, s30
	s_addc_u32 s27, s27, s31
	s_mul_hi_u32 s2, s26, 0x3d1
	s_mul_i32 s22, s27, 0x3d1
	s_add_i32 s2, s2, s22
	s_mul_i32 s22, s26, 0x3d1
	v_readlane_b32 s30, v14, 11
	s_add_u32 s30, s22, s30
	s_addc_u32 s31, s2, 0
	s_lshl_b64 s[26:27], s[26:27], 6
	s_and_b32 s62, s30, 0x3ffffff
	s_lshr_b64 s[30:31], s[30:31], 26
	v_readlane_b32 s2, v14, 12
	s_add_u32 s2, s26, s2
	s_addc_u32 s22, s27, 0
	s_add_u32 s2, s2, s30
	s_addc_u32 s22, s22, s31
	v_mov_b32_e32 v0, s2
	v_alignbit_b32 v0, s22, v0, 26
	v_readfirstlane_b32 s60, v0
	v_readlane_b32 s22, v14, 13
	s_add_i32 s60, s60, s22
	s_and_b32 s61, s2, 0x3ffffff
	s_add_u32 s26, s80, s90
	s_addc_u32 s27, s78, s91
	s_lshr_b64 s[30:31], s[26:27], 26
	s_add_u32 s44, s85, s30
	s_addc_u32 s45, s20, s31
	s_and_b32 s31, s26, 0x3ffffff
	s_and_b32 s30, s44, 0x3ffffff
	s_lshr_b64 s[26:27], s[44:45], 26
	s_add_u32 s2, s21, s26
	s_addc_u32 s3, s3, s27
	s_and_b32 s33, s2, 0x3ffffff
	s_lshr_b64 s[2:3], s[2:3], 26
	s_add_u32 s2, s84, s2
	s_addc_u32 s3, s23, s3
	;; [unrolled: 4-line block ×3, first 2 shown]
	s_mul_hi_u32 s6, s2, 0x3d1
	s_mul_i32 s7, s3, 0x3d1
	s_add_i32 s7, s6, s7
	s_mul_i32 s6, s2, 0x3d1
	v_readlane_b32 s20, v14, 32
	s_add_u32 s6, s6, s20
	s_addc_u32 s7, s7, 0
	s_lshl_b64 s[2:3], s[2:3], 6
	s_and_b32 s44, s6, 0x3ffffff
	s_lshr_b64 s[6:7], s[6:7], 26
	v_readlane_b32 s20, v14, 33
	s_add_u32 s2, s2, s20
	s_addc_u32 s3, s3, 0
	s_add_u32 s2, s2, s6
	s_addc_u32 s3, s3, s7
	s_and_b32 s45, s2, 0x3ffffff
	s_lshr_b64 s[2:3], s[2:3], 26
	v_readlane_b32 s6, v14, 34
	s_add_u32 s56, s2, s6
	s_addc_u32 s22, s3, 0
	s_add_u32 s0, s86, s0
	s_addc_u32 s1, s88, s1
	s_lshr_b64 s[2:3], s[0:1], 26
	s_add_u32 s6, s82, s2
	s_addc_u32 s7, s93, s3
	s_and_b32 s20, s0, 0x3ffffff
	s_and_b32 s2, s6, 0x3ffffff
	s_lshr_b64 s[0:1], s[6:7], 26
	s_add_u32 s0, s79, s0
	s_addc_u32 s1, s81, s1
	s_and_b32 s21, s0, 0x3ffffff
	s_lshr_b64 s[0:1], s[0:1], 26
	s_add_u32 s0, s50, s0
	s_addc_u32 s1, s51, s1
	;; [unrolled: 4-line block ×3, first 2 shown]
	s_mul_hi_u32 s6, s0, 0x3d1
	s_mul_i32 s8, s1, 0x3d1
	s_mul_i32 s7, s0, 0x3d1
	s_add_i32 s8, s6, s8
	s_add_u32 s6, s7, s16
	s_addc_u32 s7, s8, 0
	s_lshl_b64 s[0:1], s[0:1], 6
	s_and_b32 s9, s6, 0x3ffffff
	s_lshr_b64 s[6:7], s[6:7], 26
	s_add_u32 s0, s0, s17
	s_addc_u32 s1, s1, 0
	s_add_u32 s0, s0, s6
	s_addc_u32 s1, s1, s7
	v_mov_b32_e32 v0, s0
	v_alignbit_b32 v0, s1, v0, 26
	v_readfirstlane_b32 s17, v0
	s_and_b32 s0, s0, 0x3ffffff
	s_add_i32 s17, s17, s18
	s_sub_i32 s8, s5, s52
	s_lshl_b32 s5, s9, 1
	s_sub_i32 s7, s4, s10
	s_lshl_b32 s4, s2, 1
	;; [unrolled: 2-line block ×3, first 2 shown]
	s_lshl_b32 s11, s21, 1
	s_lshl_b32 s16, s23, 1
	s_lshl_b32 s1, s0, 1
	s_lshl_b32 s50, s17, 1
	s_add_i32 s5, s5, s44
	s_add_i32 s4, s4, s30
	;; [unrolled: 1-line block ×7, first 2 shown]
	s_sub_i32 s5, s62, s5
	s_sub_i32 s4, s57, s4
	s_sub_i32 s10, s53, s10
	s_sub_i32 s11, s58, s11
	s_sub_i32 s16, s59, s16
	s_sub_i32 s1, s61, s1
	s_sub_i32 s54, s60, s50
	s_add_i32 s8, s8, 0xffffffc
	s_add_i32 s7, s7, 0xffffffc
	s_sub_i32 s82, s9, s5
	s_sub_i32 s81, s20, s10
	;; [unrolled: 1-line block ×3, first 2 shown]
	s_add_i32 s51, s4, 0x1ffffff8
	s_sub_i32 s2, s21, s11
	s_sub_i32 s4, s23, s16
	;; [unrolled: 1-line block ×4, first 2 shown]
	s_add_i32 s6, s6, 0xffffffc
	s_mul_i32 s27, s8, s69
	s_mul_i32 s57, s7, s75
	s_add_i32 s50, s5, 0x1fffe178
	s_add_i32 s52, s10, 0x1ffffff8
	;; [unrolled: 1-line block ×13, first 2 shown]
	s_mul_hi_u32 s26, s8, s69
	s_mul_hi_u32 s37, s7, s75
	s_add_u32 s0, s57, s27
	s_mul_i32 s59, s6, s73
	s_addc_u32 s1, s37, s26
	s_mul_hi_u32 s58, s6, s73
	s_add_u32 s0, s0, s59
	s_addc_u32 s1, s1, s58
	s_mul_i32 s16, s81, s71
	s_add_u32 s0, s0, s16
	s_mul_hi_u32 s16, s81, s71
	s_addc_u32 s1, s1, s16
	s_mul_i32 s16, s80, s77
	s_add_u32 s0, s0, s16
	s_mul_hi_u32 s16, s80, s77
	;; [unrolled: 4-line block ×4, first 2 shown]
	s_addc_u32 s1, s1, s16
	s_mul_i32 s16, s82, s76
	s_mul_hi_u32 s10, s82, s76
	s_add_u32 s0, s0, s16
	s_addc_u32 s1, s1, s10
	s_mul_i32 s10, s9, s74
	s_mul_hi_u32 s16, s9, s74
	s_add_u32 s0, s0, s10
	;; [unrolled: 4-line block ×3, first 2 shown]
	s_addc_u32 s1, s1, s10
	s_mul_i32 s78, s8, s70
	s_mul_i32 s18, s7, s69
	s_and_b32 s10, s0, 0x3ffffff
	s_lshr_b64 s[0:1], s[0:1], 26
	s_mul_hi_u32 s60, s8, s70
	s_mul_hi_u32 s2, s7, s69
	s_add_u32 s17, s18, s78
	s_mul_i32 s5, s6, s75
	s_addc_u32 s2, s2, s60
	s_mul_hi_u32 s16, s6, s75
	s_add_u32 s5, s17, s5
	s_mul_i32 s17, s81, s73
	s_addc_u32 s2, s2, s16
	;; [unrolled: 4-line block ×5, first 2 shown]
	s_mul_hi_u32 s16, s4, s72
	s_add_u32 s5, s5, s17
	s_addc_u32 s2, s2, s16
	s_mul_i32 s16, s9, s76
	s_add_u32 s5, s5, s16
	s_mul_hi_u32 s16, s9, s76
	s_addc_u32 s2, s2, s16
	s_mul_i32 s16, s79, s74
	s_add_u32 s5, s5, s16
	s_mul_hi_u32 s16, s79, s74
	s_addc_u32 s2, s2, s16
	s_add_u32 s0, s5, s0
	s_addc_u32 s1, s2, s1
	s_and_b32 s2, s0, 0x3ffffff
	s_mul_i32 s17, s82, s68
	s_lshr_b64 s[0:1], s[0:1], 26
	s_mul_i32 s16, s2, 0x3d10
	s_mul_hi_u32 s5, s82, s68
	s_mul_hi_u32 s21, s2, 0x3d10
	s_add_u32 s20, s16, s17
	s_mov_b32 s3, s25
	s_addc_u32 s21, s21, s5
	s_mul_i32 s18, s8, s74
	s_mul_i32 s23, s7, s70
	s_lshl_b64 s[2:3], s[2:3], 10
	s_and_b32 s16, s20, 0x3ffffff
	s_lshr_b64 s[20:21], s[20:21], 26
	s_mul_hi_u32 s5, s8, s74
	s_add_u32 s17, s23, s18
	s_mul_hi_u32 s18, s7, s70
	s_addc_u32 s5, s18, s5
	s_mul_i32 s18, s6, s69
	s_add_u32 s17, s17, s18
	s_mul_hi_u32 s18, s6, s69
	s_addc_u32 s5, s5, s18
	s_mul_i32 s18, s81, s75
	;; [unrolled: 4-line block ×6, first 2 shown]
	s_add_u32 s17, s17, s18
	s_mul_hi_u32 s18, s79, s76
	s_addc_u32 s5, s5, s18
	s_add_u32 s0, s17, s0
	s_addc_u32 s1, s5, s1
	s_mul_i32 s5, s82, s72
	s_and_b32 s26, s0, 0x3ffffff
	s_lshr_b64 s[0:1], s[0:1], 26
	s_mul_i32 s17, s9, s68
	s_add_u32 s5, s17, s5
	s_mul_hi_u32 s17, s82, s72
	s_mul_hi_u32 s18, s9, s68
	s_addc_u32 s17, s18, s17
	s_add_u32 s2, s5, s2
	s_addc_u32 s3, s17, s3
	s_add_u32 s2, s2, s20
	s_addc_u32 s3, s3, s21
	s_mul_i32 s17, s26, 0x3d10
	s_mul_hi_u32 s18, s26, 0x3d10
	s_add_u32 s2, s2, s17
	s_mov_b32 s27, s25
	s_addc_u32 s3, s3, s18
	s_mul_i32 s5, s8, s76
	s_mul_i32 s18, s7, s74
	s_lshl_b64 s[20:21], s[26:27], 10
	s_and_b32 s17, s2, 0x3ffffff
	s_lshr_b64 s[2:3], s[2:3], 26
	s_add_u32 s5, s18, s5
	s_mul_hi_u32 s18, s8, s76
	s_mul_hi_u32 s23, s7, s74
	s_addc_u32 s18, s23, s18
	s_mul_i32 s23, s6, s70
	s_add_u32 s5, s5, s23
	s_mul_hi_u32 s23, s6, s70
	s_addc_u32 s18, s18, s23
	s_mul_i32 s23, s81, s69
	s_add_u32 s5, s5, s23
	;; [unrolled: 4-line block ×5, first 2 shown]
	s_mul_hi_u32 s23, s4, s71
	s_addc_u32 s18, s18, s23
	s_add_u32 s0, s5, s0
	s_addc_u32 s1, s18, s1
	s_and_b32 s26, s0, 0x3ffffff
	s_lshr_b64 s[58:59], s[0:1], 26
	s_mul_i32 s0, s82, s77
	s_mul_i32 s1, s9, s72
	s_add_u32 s0, s1, s0
	s_mul_hi_u32 s1, s82, s77
	s_mul_hi_u32 s5, s9, s72
	s_addc_u32 s1, s5, s1
	s_mul_i32 s5, s79, s68
	s_add_u32 s0, s0, s5
	s_mul_hi_u32 s5, s79, s68
	s_addc_u32 s1, s1, s5
	s_add_u32 s0, s0, s20
	s_addc_u32 s1, s1, s21
	s_mul_i32 s5, s26, 0x3d10
	s_add_u32 s0, s0, s5
	s_mul_hi_u32 s5, s26, 0x3d10
	s_addc_u32 s1, s1, s5
	s_add_u32 s0, s0, s2
	s_addc_u32 s1, s1, s3
	s_mul_i32 s5, s7, s76
	s_lshl_b64 s[2:3], s[26:27], 10
	s_and_b32 s18, s0, 0x3ffffff
	s_lshr_b64 s[0:1], s[0:1], 26
	s_mul_i32 s20, s6, s74
	s_add_u32 s5, s20, s5
	s_mul_hi_u32 s20, s7, s76
	s_mul_hi_u32 s21, s6, s74
	s_addc_u32 s20, s21, s20
	s_mul_i32 s21, s81, s70
	s_add_u32 s5, s5, s21
	s_mul_hi_u32 s21, s81, s70
	s_addc_u32 s20, s20, s21
	s_mul_i32 s21, s80, s69
	s_add_u32 s5, s5, s21
	;; [unrolled: 4-line block ×4, first 2 shown]
	s_mul_hi_u32 s21, s4, s73
	s_addc_u32 s21, s20, s21
	s_add_u32 s20, s5, s58
	s_addc_u32 s21, s21, s59
	s_and_b32 s26, s20, 0x3ffffff
	s_lshr_b64 s[20:21], s[20:21], 26
	s_mul_i32 s5, s8, s68
	s_mul_i32 s23, s82, s71
	s_add_u32 s5, s23, s5
	s_mul_hi_u32 s23, s8, s68
	s_mul_hi_u32 s27, s82, s71
	s_addc_u32 s23, s27, s23
	s_mul_i32 s27, s9, s77
	s_add_u32 s5, s5, s27
	s_mul_hi_u32 s27, s9, s77
	s_addc_u32 s23, s23, s27
	s_mul_i32 s27, s79, s72
	s_add_u32 s5, s5, s27
	s_mul_hi_u32 s27, s79, s72
	s_addc_u32 s23, s23, s27
	s_add_u32 s2, s5, s2
	s_addc_u32 s3, s23, s3
	s_mul_i32 s5, s26, 0x3d10
	s_add_u32 s23, s2, s5
	s_mul_hi_u32 s2, s26, 0x3d10
	s_mov_b32 s27, s25
	s_addc_u32 s57, s3, s2
	s_lshl_b64 s[2:3], s[26:27], 10
	s_mul_i32 s5, s6, s76
	s_mul_i32 s26, s81, s74
	s_add_u32 s5, s26, s5
	s_mul_hi_u32 s26, s6, s76
	s_mul_hi_u32 s27, s81, s74
	s_addc_u32 s26, s27, s26
	s_mul_i32 s27, s80, s70
	s_add_u32 s5, s5, s27
	s_mul_hi_u32 s27, s80, s70
	s_addc_u32 s26, s26, s27
	s_mul_i32 s27, s11, s69
	s_add_u32 s5, s5, s27
	;; [unrolled: 4-line block ×3, first 2 shown]
	s_mul_hi_u32 s27, s4, s75
	s_addc_u32 s26, s26, s27
	s_add_u32 s20, s5, s20
	s_addc_u32 s21, s26, s21
	s_and_b32 s26, s20, 0x3ffffff
	s_lshr_b64 s[20:21], s[20:21], 26
	s_mul_i32 s5, s8, s72
	s_mul_i32 s27, s7, s68
	s_add_u32 s5, s27, s5
	s_mul_hi_u32 s27, s8, s72
	s_mul_hi_u32 s37, s7, s68
	s_addc_u32 s27, s37, s27
	s_mul_i32 s37, s82, s73
	s_add_u32 s5, s5, s37
	s_mul_hi_u32 s37, s82, s73
	s_addc_u32 s27, s27, s37
	s_mul_i32 s37, s9, s71
	s_add_u32 s5, s5, s37
	;; [unrolled: 4-line block ×3, first 2 shown]
	s_mul_hi_u32 s37, s79, s77
	s_addc_u32 s27, s27, s37
	s_add_u32 s2, s5, s2
	s_addc_u32 s3, s27, s3
	s_mul_i32 s5, s26, 0x3d10
	s_add_u32 s60, s2, s5
	s_mul_hi_u32 s2, s26, 0x3d10
	s_mov_b32 s27, s25
	s_addc_u32 s61, s3, s2
	s_lshl_b64 s[2:3], s[26:27], 10
	s_mul_i32 s5, s81, s76
	s_mul_i32 s26, s80, s74
	s_add_u32 s5, s26, s5
	s_mul_hi_u32 s26, s81, s76
	s_mul_hi_u32 s27, s80, s74
	s_addc_u32 s26, s27, s26
	s_mul_i32 s27, s11, s70
	s_add_u32 s5, s5, s27
	s_mul_hi_u32 s27, s11, s70
	s_addc_u32 s26, s26, s27
	s_mul_i32 s27, s4, s69
	s_add_u32 s5, s5, s27
	s_mul_hi_u32 s27, s4, s69
	s_addc_u32 s26, s26, s27
	s_add_u32 s20, s5, s20
	s_addc_u32 s21, s26, s21
	s_and_b32 s26, s20, 0x3ffffff
	s_lshr_b64 s[58:59], s[20:21], 26
	s_mul_i32 s5, s8, s77
	s_mul_i32 s20, s7, s72
	s_add_u32 s5, s20, s5
	s_mul_hi_u32 s20, s8, s77
	s_mul_hi_u32 s21, s7, s72
	s_addc_u32 s20, s21, s20
	s_mul_i32 s21, s6, s68
	s_add_u32 s5, s5, s21
	s_mul_hi_u32 s21, s6, s68
	s_addc_u32 s20, s20, s21
	s_mul_i32 s21, s82, s75
	s_add_u32 s5, s5, s21
	;; [unrolled: 4-line block ×4, first 2 shown]
	s_mul_hi_u32 s21, s79, s71
	s_addc_u32 s20, s20, s21
	s_add_u32 s2, s5, s2
	s_addc_u32 s3, s20, s3
	s_mul_i32 s5, s26, 0x3d10
	s_add_u32 s20, s2, s5
	s_mul_hi_u32 s2, s26, 0x3d10
	s_mov_b32 s27, s25
	s_addc_u32 s21, s3, s2
	s_lshl_b64 s[2:3], s[26:27], 10
	s_mul_i32 s5, s80, s76
	s_mul_i32 s26, s11, s74
	s_add_u32 s5, s26, s5
	s_mul_hi_u32 s26, s80, s76
	s_mul_hi_u32 s27, s11, s74
	s_addc_u32 s26, s27, s26
	s_mul_i32 s27, s4, s70
	s_add_u32 s5, s5, s27
	s_mul_hi_u32 s27, s4, s70
	s_addc_u32 s27, s26, s27
	s_add_u32 s26, s5, s58
	s_addc_u32 s27, s27, s59
	s_and_b32 s84, s26, 0x3ffffff
	s_lshr_b64 s[26:27], s[26:27], 26
	s_mul_i32 s5, s8, s71
	s_mul_i32 s37, s7, s77
	s_add_u32 s5, s37, s5
	s_mul_hi_u32 s37, s8, s71
	s_mul_hi_u32 s58, s7, s77
	s_addc_u32 s37, s58, s37
	s_mul_i32 s58, s6, s72
	s_add_u32 s5, s5, s58
	s_mul_hi_u32 s58, s6, s72
	s_addc_u32 s37, s37, s58
	s_mul_i32 s58, s81, s68
	s_add_u32 s5, s5, s58
	;; [unrolled: 4-line block ×5, first 2 shown]
	s_mul_hi_u32 s58, s79, s73
	s_addc_u32 s37, s37, s58
	s_add_u32 s2, s5, s2
	s_addc_u32 s3, s37, s3
	s_mul_i32 s5, s84, 0x3d10
	s_add_u32 s58, s2, s5
	s_mul_hi_u32 s2, s84, 0x3d10
	s_mov_b32 s85, s25
	s_addc_u32 s59, s3, s2
	s_lshl_b64 s[2:3], s[84:85], 10
	s_mul_i32 s5, s11, s76
	s_mul_i32 s37, s4, s74
	s_add_u32 s5, s37, s5
	s_mul_hi_u32 s37, s11, s76
	s_mul_hi_u32 s78, s4, s74
	s_addc_u32 s37, s78, s37
	s_add_u32 s26, s5, s26
	s_addc_u32 s27, s37, s27
	s_and_b32 s84, s26, 0x3ffffff
	s_lshr_b64 s[26:27], s[26:27], 26
	s_mul_i32 s5, s8, s73
	s_mul_i32 s37, s7, s71
	s_add_u32 s5, s37, s5
	s_mul_hi_u32 s37, s8, s73
	s_mul_hi_u32 s78, s7, s71
	s_addc_u32 s37, s78, s37
	s_mul_i32 s78, s6, s77
	s_add_u32 s5, s5, s78
	s_mul_hi_u32 s78, s6, s77
	s_addc_u32 s37, s37, s78
	s_mul_i32 s78, s81, s72
	s_add_u32 s5, s5, s78
	;; [unrolled: 4-line block ×6, first 2 shown]
	s_mul_hi_u32 s78, s79, s75
	s_addc_u32 s37, s37, s78
	s_add_u32 s2, s5, s2
	s_addc_u32 s3, s37, s3
	s_mul_hi_u32 s37, s4, s76
	s_mul_i32 s83, s4, s76
	s_mul_i32 s4, s84, 0x3d10
	s_add_u32 s76, s2, s4
	s_mul_hi_u32 s2, s84, 0x3d10
	s_addc_u32 s78, s3, s2
	s_lshl_b64 s[4:5], s[84:85], 10
	s_add_u32 s2, s26, s83
	s_addc_u32 s3, s27, s37
	s_mul_hi_u32 s26, s8, s75
	s_mul_i32 s27, s8, s75
	s_mul_hi_u32 s37, s7, s73
	s_mul_i32 s73, s7, s73
	;; [unrolled: 2-line block ×3, first 2 shown]
	s_and_b32 s8, s2, 0x3ffffff
	s_lshr_b64 s[6:7], s[2:3], 26
	s_mul_hi_u32 s71, s9, s70
	s_mul_i32 s70, s9, s70
	s_add_u32 s9, s73, s27
	s_addc_u32 s26, s37, s26
	s_add_u32 s9, s9, s83
	s_mul_hi_u32 s84, s82, s74
	s_mul_i32 s82, s82, s74
	s_mul_hi_u32 s74, s81, s77
	s_mul_i32 s81, s81, s77
	s_addc_u32 s26, s26, s75
	s_add_u32 s9, s9, s81
	s_mul_hi_u32 s77, s80, s72
	s_mul_i32 s80, s80, s72
	s_addc_u32 s26, s26, s74
	s_add_u32 s9, s9, s80
	;; [unrolled: 4-line block ×3, first 2 shown]
	s_addc_u32 s11, s26, s72
	s_add_u32 s26, s9, s82
	s_addc_u32 s27, s11, s84
	s_add_u32 s26, s26, s70
	s_mul_hi_u32 s68, s79, s69
	s_mul_i32 s79, s79, s69
	s_addc_u32 s27, s27, s71
	s_add_u32 s26, s26, s79
	s_addc_u32 s27, s27, s68
	s_add_u32 s4, s26, s4
	s_addc_u32 s5, s27, s5
	v_mov_b32_e32 v0, s2
	s_mul_i32 s2, s8, 0x3d10
	s_add_u32 s69, s4, s2
	s_mul_hi_u32 s2, s8, 0x3d10
	v_alignbit_b32 v0, s3, v0, 26
	s_addc_u32 s70, s5, s2
	v_readfirstlane_b32 s2, v0
	s_lshr_b32 s3, s3, 26
	s_mov_b32 s9, s25
	s_mul_hi_u32 s4, s2, 0x3d10
	s_mulk_i32 s3, 0x3d10
	s_add_i32 s4, s4, s3
	s_mul_i32 s5, s2, 0x3d10
	s_lshl_b64 s[2:3], s[8:9], 10
	s_add_u32 s5, s5, s10
	s_addc_u32 s4, s4, 0
	s_add_u32 s72, s5, s2
	v_readlane_b32 s86, v14, 10
	s_addc_u32 s73, s4, s3
	s_mul_hi_u32 s2, s56, s15
	s_mul_i32 s3, s22, s15
	s_mul_i32 s37, s28, s86
	;; [unrolled: 1-line block ×3, first 2 shown]
	s_add_i32 s5, s2, s3
	s_lshl_b64 s[2:3], s[6:7], 14
	s_mul_hi_u32 s68, s28, s86
	s_mul_hi_u32 s26, s19, s12
	s_add_u32 s4, s71, s37
	s_addc_u32 s7, s26, s68
	s_mul_i32 s10, s29, s13
	s_add_u32 s4, s4, s10
	s_mul_hi_u32 s10, s29, s13
	s_addc_u32 s7, s7, s10
	s_mul_i32 s10, s31, s14
	s_add_u32 s4, s4, s10
	s_mul_hi_u32 s10, s31, s14
	;; [unrolled: 4-line block ×4, first 2 shown]
	v_readlane_b32 s89, v14, 9
	s_addc_u32 s7, s7, s10
	s_mul_i32 s10, s46, s89
	s_add_u32 s4, s4, s10
	s_mul_hi_u32 s10, s46, s89
	s_addc_u32 s7, s7, s10
	s_mul_i32 s10, s44, s43
	s_add_u32 s4, s4, s10
	s_mul_hi_u32 s10, s44, s43
	;; [unrolled: 4-line block ×3, first 2 shown]
	s_addc_u32 s7, s7, s10
	s_mul_i32 s10, s56, s15
	s_add_u32 s4, s4, s10
	s_addc_u32 s5, s7, s5
	s_mul_hi_u32 s7, s56, s35
	s_mul_i32 s10, s22, s35
	s_mul_i32 s27, s28, s15
	;; [unrolled: 1-line block ×3, first 2 shown]
	s_add_i32 s7, s7, s10
	s_and_b32 s75, s4, 0x3ffffff
	s_lshr_b64 s[4:5], s[4:5], 26
	s_mul_hi_u32 s9, s28, s15
	s_mul_hi_u32 s6, s19, s86
	s_add_u32 s8, s8, s27
	s_addc_u32 s6, s6, s9
	s_mul_i32 s9, s29, s12
	s_add_u32 s8, s8, s9
	s_mul_hi_u32 s9, s29, s12
	s_addc_u32 s6, s6, s9
	s_mul_i32 s9, s31, s13
	s_add_u32 s8, s8, s9
	s_mul_hi_u32 s9, s31, s13
	;; [unrolled: 4-line block ×6, first 2 shown]
	s_addc_u32 s6, s6, s9
	s_mul_i32 s9, s56, s35
	s_add_u32 s8, s8, s9
	s_addc_u32 s6, s6, s7
	s_add_u32 s4, s8, s4
	s_addc_u32 s5, s6, s5
	s_and_b32 s10, s4, 0x3ffffff
	s_mul_i32 s9, s44, s89
	s_lshr_b64 s[4:5], s[4:5], 26
	s_mul_i32 s6, s10, 0x3d10
	s_mul_hi_u32 s7, s44, s89
	s_mul_hi_u32 s8, s10, 0x3d10
	s_add_u32 s6, s6, s9
	s_mov_b32 s11, s25
	s_addc_u32 s7, s8, s7
	s_mul_hi_u32 s8, s56, s43
	s_mul_i32 s9, s22, s43
	s_mul_i32 s26, s28, s35
	s_add_i32 s27, s8, s9
	s_lshl_b64 s[8:9], s[10:11], 10
	s_and_b32 s71, s6, 0x3ffffff
	s_lshr_b64 s[6:7], s[6:7], 26
	s_mul_i32 s10, s19, s15
	s_add_u32 s10, s10, s26
	s_mul_hi_u32 s11, s28, s35
	s_mul_hi_u32 s26, s19, s15
	s_addc_u32 s11, s26, s11
	s_mul_i32 s26, s29, s86
	s_add_u32 s10, s10, s26
	s_mul_hi_u32 s26, s29, s86
	s_addc_u32 s11, s11, s26
	s_mul_i32 s26, s31, s12
	s_add_u32 s10, s10, s26
	;; [unrolled: 4-line block ×6, first 2 shown]
	s_addc_u32 s11, s11, s27
	s_add_u32 s4, s10, s4
	s_addc_u32 s5, s11, s5
	s_and_b32 s10, s4, 0x3ffffff
	s_lshr_b64 s[4:5], s[4:5], 26
	s_mul_i32 s11, s44, s87
	s_mul_i32 s26, s45, s89
	s_add_u32 s11, s26, s11
	s_mul_hi_u32 s26, s44, s87
	s_mul_hi_u32 s27, s45, s89
	s_addc_u32 s26, s27, s26
	s_add_u32 s8, s11, s8
	s_addc_u32 s9, s26, s9
	s_add_u32 s6, s8, s6
	s_addc_u32 s7, s9, s7
	s_mul_i32 s8, s10, 0x3d10
	s_mul_hi_u32 s9, s10, 0x3d10
	s_add_u32 s6, s6, s8
	s_mov_b32 s11, s25
	s_addc_u32 s7, s7, s9
	s_mul_hi_u32 s8, s56, s89
	s_mul_i32 s9, s22, s89
	s_add_i32 s37, s8, s9
	s_lshl_b64 s[8:9], s[10:11], 10
	s_and_b32 s74, s6, 0x3ffffff
	s_lshr_b64 s[6:7], s[6:7], 26
	s_mul_i32 s10, s28, s43
	s_mul_i32 s11, s19, s35
	s_add_u32 s10, s11, s10
	s_mul_hi_u32 s11, s28, s43
	s_mul_hi_u32 s26, s19, s35
	s_addc_u32 s11, s26, s11
	s_mul_i32 s26, s29, s15
	s_add_u32 s10, s10, s26
	s_mul_hi_u32 s26, s29, s15
	s_addc_u32 s11, s11, s26
	s_mul_i32 s26, s31, s86
	s_add_u32 s10, s10, s26
	;; [unrolled: 4-line block ×5, first 2 shown]
	s_mul_hi_u32 s26, s46, s14
	s_addc_u32 s11, s11, s26
	s_add_u32 s4, s10, s4
	s_addc_u32 s5, s11, s5
	s_and_b32 s10, s4, 0x3ffffff
	s_lshr_b64 s[26:27], s[4:5], 26
	s_mul_i32 s4, s44, s34
	s_mul_i32 s5, s45, s87
	s_add_u32 s4, s5, s4
	s_mul_hi_u32 s5, s44, s34
	s_mul_hi_u32 s11, s45, s87
	s_addc_u32 s5, s11, s5
	s_mul_i32 s11, s56, s89
	s_add_u32 s4, s4, s11
	s_addc_u32 s5, s5, s37
	s_add_u32 s4, s4, s8
	s_addc_u32 s5, s5, s9
	s_mul_i32 s8, s10, 0x3d10
	s_add_u32 s4, s4, s8
	s_mul_hi_u32 s8, s10, 0x3d10
	s_addc_u32 s5, s5, s8
	s_add_u32 s4, s4, s6
	s_addc_u32 s5, s5, s7
	s_mul_hi_u32 s6, s56, s87
	s_mul_i32 s7, s22, s87
	s_mov_b32 s11, s25
	s_add_i32 s37, s6, s7
	s_lshl_b64 s[6:7], s[10:11], 10
	s_and_b32 s68, s4, 0x3ffffff
	s_lshr_b64 s[4:5], s[4:5], 26
	s_mul_i32 s8, s19, s43
	s_mul_i32 s9, s29, s35
	s_add_u32 s8, s9, s8
	s_mul_hi_u32 s9, s19, s43
	s_mul_hi_u32 s10, s29, s35
	s_addc_u32 s9, s10, s9
	s_mul_i32 s10, s31, s15
	s_add_u32 s8, s8, s10
	s_mul_hi_u32 s10, s31, s15
	s_addc_u32 s9, s9, s10
	s_mul_i32 s10, s30, s86
	s_add_u32 s8, s8, s10
	;; [unrolled: 4-line block ×4, first 2 shown]
	s_mul_hi_u32 s10, s46, s13
	s_addc_u32 s9, s9, s10
	s_add_u32 s8, s8, s26
	s_addc_u32 s9, s9, s27
	s_and_b32 s10, s8, 0x3ffffff
	s_lshr_b64 s[8:9], s[8:9], 26
	s_mul_i32 s11, s28, s89
	s_mul_i32 s26, s44, s14
	s_add_u32 s11, s26, s11
	s_mul_hi_u32 s26, s28, s89
	s_mul_hi_u32 s27, s44, s14
	s_addc_u32 s26, s27, s26
	s_mul_i32 s27, s45, s34
	s_add_u32 s11, s11, s27
	s_mul_hi_u32 s27, s45, s34
	s_addc_u32 s26, s26, s27
	s_mul_i32 s27, s56, s87
	s_add_u32 s11, s11, s27
	s_addc_u32 s26, s26, s37
	s_add_u32 s6, s11, s6
	s_addc_u32 s7, s26, s7
	s_mul_i32 s11, s10, 0x3d10
	s_add_u32 s77, s6, s11
	s_mul_hi_u32 s6, s10, 0x3d10
	s_addc_u32 s79, s7, s6
	s_mul_hi_u32 s6, s56, s34
	s_mul_i32 s7, s22, s34
	s_mov_b32 s11, s25
	s_add_i32 s26, s6, s7
	s_lshl_b64 s[6:7], s[10:11], 10
	s_mul_i32 s10, s29, s43
	s_mul_i32 s11, s31, s35
	s_add_u32 s10, s11, s10
	s_mul_hi_u32 s11, s29, s43
	s_mul_hi_u32 s27, s31, s35
	s_addc_u32 s11, s27, s11
	s_mul_i32 s27, s30, s15
	s_add_u32 s10, s10, s27
	s_mul_hi_u32 s27, s30, s15
	s_addc_u32 s11, s11, s27
	s_mul_i32 s27, s33, s86
	s_add_u32 s10, s10, s27
	;; [unrolled: 4-line block ×3, first 2 shown]
	s_mul_hi_u32 s27, s46, s12
	s_addc_u32 s11, s11, s27
	s_add_u32 s8, s10, s8
	s_addc_u32 s9, s11, s9
	s_and_b32 s10, s8, 0x3ffffff
	s_lshr_b64 s[8:9], s[8:9], 26
	s_mul_i32 s11, s28, s87
	s_mul_i32 s27, s19, s89
	s_add_u32 s11, s27, s11
	s_mul_hi_u32 s27, s28, s87
	s_mul_hi_u32 s37, s19, s89
	s_addc_u32 s27, s37, s27
	s_mul_i32 s37, s44, s13
	s_add_u32 s11, s11, s37
	s_mul_hi_u32 s37, s44, s13
	s_addc_u32 s27, s27, s37
	s_mul_i32 s37, s45, s14
	s_add_u32 s11, s11, s37
	s_mul_hi_u32 s37, s45, s14
	s_addc_u32 s27, s27, s37
	s_mul_i32 s37, s56, s34
	s_add_u32 s11, s11, s37
	s_addc_u32 s26, s27, s26
	s_add_u32 s6, s11, s6
	s_addc_u32 s7, s26, s7
	s_mul_i32 s11, s10, 0x3d10
	s_add_u32 s80, s6, s11
	s_mul_hi_u32 s6, s10, 0x3d10
	s_addc_u32 s81, s7, s6
	s_mul_hi_u32 s6, s56, s14
	s_mul_i32 s7, s22, s14
	s_mov_b32 s11, s25
	s_add_i32 s26, s6, s7
	s_lshl_b64 s[6:7], s[10:11], 10
	s_mul_i32 s10, s31, s43
	s_mul_i32 s11, s30, s35
	s_add_u32 s10, s11, s10
	s_mul_hi_u32 s11, s31, s43
	s_mul_hi_u32 s27, s30, s35
	s_addc_u32 s11, s27, s11
	s_mul_i32 s27, s33, s15
	s_add_u32 s10, s10, s27
	s_mul_hi_u32 s27, s33, s15
	s_addc_u32 s11, s11, s27
	s_mul_i32 s27, s46, s86
	s_add_u32 s10, s10, s27
	s_mul_hi_u32 s27, s46, s86
	s_addc_u32 s11, s11, s27
	s_add_u32 s8, s10, s8
	s_addc_u32 s9, s11, s9
	s_and_b32 s10, s8, 0x3ffffff
	s_lshr_b64 s[8:9], s[8:9], 26
	s_mul_i32 s11, s28, s34
	s_mul_i32 s27, s19, s87
	s_add_u32 s11, s27, s11
	s_mul_hi_u32 s27, s28, s34
	s_mul_hi_u32 s37, s19, s87
	s_addc_u32 s27, s37, s27
	s_mul_i32 s37, s29, s89
	s_add_u32 s11, s11, s37
	s_mul_hi_u32 s37, s29, s89
	s_addc_u32 s27, s27, s37
	s_mul_i32 s37, s44, s12
	s_add_u32 s11, s11, s37
	;; [unrolled: 4-line block ×4, first 2 shown]
	s_addc_u32 s26, s27, s26
	s_add_u32 s6, s11, s6
	s_addc_u32 s7, s26, s7
	s_mul_i32 s11, s10, 0x3d10
	s_add_u32 s84, s6, s11
	s_mul_hi_u32 s6, s10, 0x3d10
	s_addc_u32 s85, s7, s6
	s_mul_hi_u32 s6, s56, s13
	s_mul_i32 s7, s22, s13
	s_mov_b32 s11, s25
	s_add_i32 s26, s6, s7
	s_lshl_b64 s[6:7], s[10:11], 10
	s_mul_i32 s10, s30, s43
	s_mul_i32 s11, s33, s35
	s_add_u32 s10, s11, s10
	s_mul_hi_u32 s11, s30, s43
	s_mul_hi_u32 s27, s33, s35
	s_addc_u32 s11, s27, s11
	s_mul_i32 s27, s46, s15
	s_add_u32 s10, s10, s27
	s_mul_hi_u32 s27, s46, s15
	s_addc_u32 s11, s11, s27
	s_add_u32 s8, s10, s8
	s_addc_u32 s9, s11, s9
	s_and_b32 s10, s8, 0x3ffffff
	s_lshr_b64 s[8:9], s[8:9], 26
	s_mul_i32 s11, s28, s14
	s_mul_i32 s27, s19, s34
	s_add_u32 s11, s27, s11
	s_mul_hi_u32 s27, s28, s14
	s_mul_hi_u32 s37, s19, s34
	s_addc_u32 s27, s37, s27
	s_mul_i32 s37, s29, s87
	s_add_u32 s11, s11, s37
	s_mul_hi_u32 s37, s29, s87
	s_addc_u32 s27, s27, s37
	s_mul_i32 s37, s31, s89
	s_add_u32 s11, s11, s37
	;; [unrolled: 4-line block ×5, first 2 shown]
	s_addc_u32 s26, s27, s26
	s_add_u32 s6, s11, s6
	s_addc_u32 s7, s26, s7
	s_mul_i32 s11, s10, 0x3d10
	s_add_u32 s82, s6, s11
	s_mul_hi_u32 s6, s10, 0x3d10
	s_addc_u32 s83, s7, s6
	s_mul_hi_u32 s6, s56, s12
	s_mul_i32 s7, s22, s12
	s_mov_b32 s11, s25
	s_add_i32 s37, s6, s7
	s_lshl_b64 s[6:7], s[10:11], 10
	s_mul_i32 s10, s33, s43
	s_mul_i32 s11, s46, s35
	s_add_u32 s10, s11, s10
	s_mul_hi_u32 s11, s33, s43
	s_mul_hi_u32 s26, s46, s35
	s_addc_u32 s11, s26, s11
	s_add_u32 s8, s10, s8
	s_addc_u32 s9, s11, s9
	s_and_b32 s10, s8, 0x3ffffff
	s_lshr_b64 s[26:27], s[8:9], 26
	s_mul_i32 s8, s28, s13
	s_mul_i32 s9, s19, s14
	s_add_u32 s8, s9, s8
	s_mul_hi_u32 s9, s28, s13
	s_mul_hi_u32 s11, s19, s14
	s_addc_u32 s9, s11, s9
	s_mul_i32 s11, s29, s34
	s_add_u32 s8, s8, s11
	s_mul_hi_u32 s11, s29, s34
	s_addc_u32 s9, s9, s11
	s_mul_i32 s11, s31, s87
	s_add_u32 s8, s8, s11
	;; [unrolled: 4-line block ×6, first 2 shown]
	s_addc_u32 s9, s9, s37
	s_add_u32 s6, s8, s6
	s_addc_u32 s7, s9, s7
	s_mul_i32 s8, s10, 0x3d10
	s_mul_hi_u32 s37, s46, s43
	s_mul_i32 s88, s46, s43
	s_add_u32 s43, s6, s8
	s_mul_hi_u32 s6, s10, 0x3d10
	s_addc_u32 s46, s7, s6
	s_mov_b32 s6, s86
	s_mul_i32 s22, s22, s86
	s_mul_hi_u32 s86, s56, s86
	s_mov_b32 s11, s25
	s_add_i32 s86, s86, s22
	s_lshl_b64 s[8:9], s[10:11], 10
	s_mov_b32 s90, s6
	s_add_u32 s6, s26, s88
	s_addc_u32 s7, s27, s37
	v_mov_b32_e32 v0, s6
	s_mul_i32 s22, s28, s12
	s_mul_hi_u32 s26, s19, s13
	s_mul_i32 s19, s19, s13
	v_alignbit_b32 v0, s7, v0, 26
	s_and_b32 s10, s6, 0x3ffffff
	s_lshr_b64 s[6:7], s[6:7], 26
	s_mul_hi_u32 s11, s28, s12
	s_add_u32 s19, s19, s22
	s_mul_hi_u32 s27, s29, s14
	s_mul_i32 s29, s29, s14
	s_addc_u32 s11, s26, s11
	s_add_u32 s19, s19, s29
	s_mul_hi_u32 s37, s31, s34
	s_mul_i32 s31, s31, s34
	s_addc_u32 s11, s11, s27
	;; [unrolled: 4-line block ×6, first 2 shown]
	s_add_u32 s26, s27, s15
	s_mul_i32 s13, s56, s90
	s_addc_u32 s12, s14, s12
	s_add_u32 s13, s26, s13
	s_addc_u32 s12, s12, s86
	s_add_u32 s8, s13, s8
	s_addc_u32 s9, s12, s9
	s_mul_i32 s12, s10, 0x3d10
	s_mov_b32 s11, s25
	s_mul_hi_u32 s14, s10, 0x3d10
	v_readfirstlane_b32 s26, v0
	s_add_u32 s44, s8, s12
	s_mul_i32 s12, s26, 0x3d10
	s_addc_u32 s86, s9, s14
	s_lshl_b64 s[8:9], s[10:11], 10
	s_add_u32 s10, s12, s75
	s_mul_hi_u32 s11, s26, 0x3d10
	s_addc_u32 s11, s11, 0
	s_add_u32 s87, s10, s8
	s_addc_u32 s88, s11, s9
	s_lshl_b64 s[34:35], s[6:7], 14
	s_add_u32 s0, s23, s0
	s_addc_u32 s1, s57, s1
	s_lshr_b64 s[6:7], s[0:1], 26
	s_add_u32 s6, s60, s6
	s_addc_u32 s7, s61, s7
	s_and_b32 s8, s0, 0x3ffffff
	s_and_b32 s10, s6, 0x3ffffff
	s_lshr_b64 s[0:1], s[6:7], 26
	s_add_u32 s0, s20, s0
	s_addc_u32 s1, s21, s1
	s_and_b32 s6, s0, 0x3ffffff
	s_lshr_b64 s[20:21], s[0:1], 26
	s_add_u32 s0, s77, s4
	s_addc_u32 s1, s79, s5
	s_lshr_b64 s[4:5], s[0:1], 26
	s_add_u32 s4, s80, s4
	s_addc_u32 s5, s81, s5
	s_and_b32 s12, s0, 0x3ffffff
	s_and_b32 s14, s4, 0x3ffffff
	s_lshr_b64 s[0:1], s[4:5], 26
	s_add_u32 s26, s84, s0
	s_addc_u32 s27, s85, s1
	s_sub_i32 s0, s10, s14
	s_sub_i32 s4, s8, s12
	s_and_b32 s8, s26, 0x3ffffff
	s_add_i32 s37, s0, 0xffffffc
	s_sub_i32 s0, s6, s8
	s_lshr_b64 s[26:27], s[26:27], 26
	s_add_i32 s85, s4, 0xffffffc
	s_add_i32 s89, s0, 0xffffffc
	s_add_u32 s20, s58, s20
	s_addc_u32 s21, s59, s21
	s_lshr_b64 s[58:59], s[20:21], 26
	s_add_u32 s60, s76, s58
	s_addc_u32 s61, s78, s59
	s_and_b32 s75, s20, 0x3ffffff
	s_and_b32 s0, s60, 0x3ffffff
	s_lshr_b64 s[60:61], s[60:61], 26
	s_add_u32 s76, s69, s60
	s_addc_u32 s77, s70, s61
	s_and_b32 s60, s76, 0x3ffffff
	s_lshr_b64 s[76:77], s[76:77], 26
	s_add_u32 s72, s72, s76
	s_addc_u32 s73, s73, s77
	s_and_b32 s61, s72, 0x3fffff
	s_lshr_b64 s[72:73], s[72:73], 22
	s_add_u32 s2, s72, s2
	s_addc_u32 s3, s73, s3
	s_mul_hi_u32 s4, s2, 0x3d1
	s_mul_i32 s6, s3, 0x3d1
	s_add_i32 s4, s4, s6
	s_mul_i32 s6, s2, 0x3d1
	s_add_u32 s72, s6, s16
	s_addc_u32 s73, s4, 0
	s_and_b32 s16, s72, 0x3ffffff
	s_lshl_b64 s[2:3], s[2:3], 6
	s_lshr_b64 s[72:73], s[72:73], 26
	s_add_u32 s2, s2, s17
	s_addc_u32 s3, s3, 0
	s_add_u32 s2, s2, s72
	s_addc_u32 s3, s3, s73
	v_mov_b32_e32 v0, s2
	v_alignbit_b32 v0, s3, v0, 26
	v_readfirstlane_b32 s69, v0
	s_and_b32 s70, s2, 0x3ffffff
	s_add_i32 s69, s69, s18
	s_add_u32 s2, s82, s26
	s_addc_u32 s3, s83, s27
	s_lshr_b64 s[26:27], s[2:3], 26
	s_add_u32 s26, s43, s26
	s_addc_u32 s27, s46, s27
	s_and_b32 s72, s2, 0x3ffffff
	s_and_b32 s73, s26, 0x3ffffff
	s_lshr_b64 s[2:3], s[26:27], 26
	s_add_u32 s2, s44, s2
	s_addc_u32 s3, s86, s3
	s_and_b32 s17, s2, 0x3ffffff
	s_lshr_b64 s[2:3], s[2:3], 26
	s_add_u32 s2, s87, s2
	s_addc_u32 s3, s88, s3
	;; [unrolled: 4-line block ×3, first 2 shown]
	s_mul_hi_u32 s18, s2, 0x3d1
	s_mul_i32 s20, s3, 0x3d1
	s_add_i32 s18, s18, s20
	s_mul_i32 s20, s2, 0x3d1
	s_add_u32 s26, s20, s71
	s_addc_u32 s27, s18, 0
	s_and_b32 s23, s26, 0x3ffffff
	s_lshl_b64 s[34:35], s[2:3], 6
	s_lshr_b64 s[2:3], s[26:27], 26
	s_add_u32 s20, s34, s74
	s_addc_u32 s26, s35, 0
	v_readlane_b32 s80, v15, 22
	s_add_u32 s2, s20, s2
	v_readlane_b32 s81, v15, 23
	s_addc_u32 s3, s26, s3
	v_mov_b32_e32 v0, s2
	s_sub_i32 s60, s60, s17
	s_mul_i32 s17, s40, s81
	s_mul_hi_u32 s34, s40, s80
	v_alignbit_b32 v0, s3, v0, 26
	s_sub_i32 s43, s61, s43
	s_add_i32 s61, s34, s17
	v_readfirstlane_b32 s34, v0
	s_and_b32 s2, s2, 0x3ffffff
	s_add_i32 s34, s34, s68
	v_readlane_b32 s19, v15, 17
	v_readlane_b32 s22, v15, 24
	s_sub_i32 s26, s16, s23
	s_sub_i32 s27, s0, s73
	;; [unrolled: 1-line block ×5, first 2 shown]
	s_mul_i32 s59, s67, s19
	s_mul_i32 s72, s65, s22
	s_add_i32 s34, s26, 0xffff0bc
	s_add_i32 s69, s35, 0xffffffc
	;; [unrolled: 1-line block ×7, first 2 shown]
	v_readlane_b32 s56, v15, 25
	s_mul_hi_u32 s21, s67, s19
	s_mul_hi_u32 s3, s65, s22
	s_add_u32 s2, s72, s59
	s_addc_u32 s3, s3, s21
	s_mul_i32 s21, s63, s56
	v_readlane_b32 s45, v15, 26
	s_add_u32 s2, s2, s21
	s_mul_hi_u32 s21, s63, s56
	s_addc_u32 s3, s3, s21
	s_mul_i32 s21, s64, s45
	v_readlane_b32 s82, v15, 18
	s_add_u32 s2, s2, s21
	s_mul_hi_u32 s21, s64, s45
	;; [unrolled: 5-line block ×3, first 2 shown]
	s_addc_u32 s3, s3, s21
	s_mul_i32 s21, s36, s79
	s_add_u32 s2, s2, s21
	s_mul_hi_u32 s21, s36, s79
	s_addc_u32 s3, s3, s21
	s_mul_i32 s21, s24, s41
	s_add_u32 s2, s2, s21
	s_mul_hi_u32 s21, s24, s41
	s_addc_u32 s3, s3, s21
	s_mul_i32 s21, s40, s80
	s_add_u32 s2, s2, s21
	s_addc_u32 s3, s3, s61
	s_mul_i32 s27, s39, s42
	v_readlane_b32 s33, v15, 16
	s_mul_hi_u32 s21, s39, s42
	s_add_u32 s2, s2, s27
	s_addc_u32 s3, s3, s21
	s_mul_i32 s21, s38, s33
	s_mul_hi_u32 s27, s38, s33
	s_add_u32 s2, s2, s21
	s_addc_u32 s3, s3, s27
	s_mul_i32 s21, s39, s81
	s_mul_hi_u32 s27, s39, s80
	s_mul_i32 s57, s67, s33
	s_mul_i32 s26, s65, s19
	s_add_i32 s27, s27, s21
	s_and_b32 s21, s2, 0x3ffffff
	s_lshr_b64 s[2:3], s[2:3], 26
	s_mul_hi_u32 s30, s67, s33
	s_mul_hi_u32 s74, s65, s19
	s_add_u32 s26, s26, s57
	s_addc_u32 s30, s74, s30
	s_mul_i32 s57, s63, s22
	s_add_u32 s26, s26, s57
	s_mul_hi_u32 s57, s63, s22
	s_addc_u32 s30, s30, s57
	s_mul_i32 s57, s64, s56
	s_add_u32 s26, s26, s57
	s_mul_hi_u32 s57, s64, s56
	;; [unrolled: 4-line block ×5, first 2 shown]
	s_addc_u32 s30, s30, s57
	s_mul_i32 s57, s39, s80
	s_add_u32 s26, s26, s57
	s_addc_u32 s27, s30, s27
	s_mul_i32 s30, s38, s42
	s_add_u32 s26, s26, s30
	s_mul_hi_u32 s30, s38, s42
	s_addc_u32 s27, s27, s30
	s_add_u32 s2, s26, s2
	s_addc_u32 s3, s27, s3
	s_and_b32 s30, s2, 0x3ffffff
	s_mul_i32 s26, s40, s41
	s_lshr_b64 s[2:3], s[2:3], 26
	s_mul_i32 s60, s30, 0x3d10
	s_mul_hi_u32 s57, s40, s41
	s_mul_hi_u32 s27, s30, 0x3d10
	s_add_u32 s26, s60, s26
	s_mov_b32 s31, s25
	s_addc_u32 s27, s27, s57
	s_mul_i32 s57, s38, s81
	s_mul_hi_u32 s60, s38, s80
	s_mul_i32 s58, s67, s42
	s_mul_i32 s59, s65, s33
	s_add_i32 s72, s60, s57
	s_and_b32 s57, s26, 0x3ffffff
	s_lshl_b64 s[60:61], s[30:31], 10
	s_lshr_b64 s[26:27], s[26:27], 26
	s_mul_hi_u32 s14, s67, s42
	s_add_u32 s30, s59, s58
	s_mul_hi_u32 s31, s65, s33
	s_addc_u32 s14, s31, s14
	s_mul_i32 s31, s63, s19
	s_add_u32 s30, s30, s31
	s_mul_hi_u32 s31, s63, s19
	s_addc_u32 s14, s14, s31
	s_mul_i32 s31, s64, s22
	;; [unrolled: 4-line block ×6, first 2 shown]
	s_add_u32 s31, s30, s31
	s_addc_u32 s14, s14, s72
	s_add_u32 s2, s31, s2
	s_addc_u32 s3, s14, s3
	s_mul_i32 s12, s67, s81
	s_mul_hi_u32 s28, s67, s80
	s_mul_i32 s46, s67, s80
	s_mul_hi_u32 s8, s67, s41
	;; [unrolled: 2-line block ×7, first 2 shown]
	s_mul_i32 s59, s67, s22
	s_mov_b32 s30, s67
	s_mul_i32 s58, s40, s79
	s_mul_i32 s67, s39, s41
	s_and_b32 s14, s2, 0x3ffffff
	s_lshr_b64 s[72:73], s[2:3], 26
	s_mul_hi_u32 s31, s40, s79
	s_add_u32 s2, s67, s58
	s_mul_hi_u32 s3, s39, s41
	s_addc_u32 s3, s3, s31
	s_add_u32 s2, s2, s60
	s_addc_u32 s3, s3, s61
	s_add_u32 s2, s2, s26
	s_addc_u32 s3, s3, s27
	s_mul_i32 s27, s14, 0x3d10
	s_mul_hi_u32 s26, s14, 0x3d10
	s_add_u32 s2, s2, s27
	s_mov_b32 s15, s25
	s_addc_u32 s3, s3, s26
	s_mul_i32 s31, s65, s42
	s_add_i32 s28, s28, s12
	s_and_b32 s58, s2, 0x3ffffff
	s_lshl_b64 s[14:15], s[14:15], 10
	s_lshr_b64 s[2:3], s[2:3], 26
	s_mul_hi_u32 s60, s65, s42
	s_add_u32 s12, s31, s46
	s_addc_u32 s26, s60, s28
	s_mul_i32 s27, s63, s33
	s_add_u32 s12, s12, s27
	s_mul_hi_u32 s27, s63, s33
	s_addc_u32 s26, s26, s27
	s_mul_i32 s27, s64, s19
	s_add_u32 s12, s12, s27
	s_mul_hi_u32 s27, s64, s19
	;; [unrolled: 4-line block ×5, first 2 shown]
	s_addc_u32 s27, s26, s27
	s_add_u32 s26, s12, s72
	s_addc_u32 s27, s27, s73
	s_mul_i32 s31, s40, s82
	s_mul_i32 s46, s39, s79
	s_and_b32 s28, s26, 0x3ffffff
	s_lshr_b64 s[26:27], s[26:27], 26
	s_mul_hi_u32 s12, s40, s82
	s_add_u32 s31, s46, s31
	s_mul_hi_u32 s46, s39, s79
	s_addc_u32 s12, s46, s12
	s_mul_i32 s46, s38, s41
	s_add_u32 s31, s31, s46
	s_mul_hi_u32 s46, s38, s41
	s_addc_u32 s12, s12, s46
	s_add_u32 s14, s31, s14
	s_addc_u32 s12, s12, s15
	s_mul_i32 s15, s28, 0x3d10
	s_add_u32 s14, s14, s15
	s_mul_hi_u32 s15, s28, 0x3d10
	s_addc_u32 s12, s12, s15
	s_add_u32 s72, s14, s2
	s_mov_b32 s29, s25
	s_mul_i32 s61, s65, s81
	s_mul_hi_u32 s74, s65, s80
	s_addc_u32 s73, s12, s3
	s_mul_i32 s76, s65, s80
	s_mul_i32 s3, s63, s42
	s_add_i32 s12, s74, s61
	s_and_b32 s14, s72, 0x3ffffff
	s_lshl_b64 s[74:75], s[28:29], 10
	s_lshr_b64 s[72:73], s[72:73], 26
	s_add_u32 s3, s3, s76
	s_mul_hi_u32 s15, s63, s42
	s_addc_u32 s12, s15, s12
	s_mul_i32 s15, s64, s33
	s_add_u32 s3, s3, s15
	s_mul_hi_u32 s15, s64, s33
	s_addc_u32 s12, s12, s15
	s_mul_i32 s15, s66, s19
	;; [unrolled: 4-line block ×4, first 2 shown]
	s_add_u32 s3, s3, s15
	s_mul_hi_u32 s15, s24, s56
	s_addc_u32 s12, s12, s15
	s_add_u32 s26, s3, s26
	s_addc_u32 s27, s12, s27
	s_mul_i32 s3, s40, s45
	s_and_b32 s12, s26, 0x3ffffff
	s_lshr_b64 s[26:27], s[26:27], 26
	s_add_u32 s3, s3, s10
	s_mul_hi_u32 s10, s40, s45
	s_addc_u32 s8, s10, s8
	s_mul_i32 s10, s39, s82
	s_add_u32 s3, s3, s10
	s_mul_hi_u32 s10, s39, s82
	s_addc_u32 s8, s8, s10
	s_mul_i32 s10, s38, s79
	s_add_u32 s3, s3, s10
	s_mul_hi_u32 s10, s38, s79
	s_addc_u32 s8, s8, s10
	s_add_u32 s3, s3, s74
	s_addc_u32 s8, s8, s75
	s_mul_i32 s29, s12, 0x3d10
	s_add_u32 s3, s3, s29
	s_mul_hi_u32 s29, s12, 0x3d10
	s_addc_u32 s8, s8, s29
	s_add_u32 s72, s3, s72
	s_mov_b32 s13, s25
	s_mul_i32 s10, s63, s81
	s_addc_u32 s73, s8, s73
	s_mul_hi_u32 s3, s63, s80
	s_mul_i32 s8, s63, s80
	s_mul_i32 s29, s64, s42
	s_add_i32 s3, s3, s10
	s_and_b32 s93, s72, 0x3ffffff
	s_lshl_b64 s[74:75], s[12:13], 10
	s_lshr_b64 s[72:73], s[72:73], 26
	s_add_u32 s8, s29, s8
	s_mul_hi_u32 s10, s64, s42
	s_addc_u32 s3, s10, s3
	s_mul_i32 s10, s66, s33
	s_add_u32 s8, s8, s10
	s_mul_hi_u32 s10, s66, s33
	s_addc_u32 s3, s3, s10
	s_mul_i32 s10, s36, s19
	;; [unrolled: 4-line block ×3, first 2 shown]
	s_add_u32 s8, s8, s10
	s_mul_hi_u32 s10, s24, s22
	s_addc_u32 s3, s3, s10
	s_add_u32 s26, s8, s26
	s_addc_u32 s27, s3, s27
	s_mul_i32 s77, s65, s41
	s_and_b32 s8, s26, 0x3ffffff
	s_lshr_b64 s[26:27], s[26:27], 26
	s_mul_hi_u32 s67, s65, s41
	s_add_u32 s6, s77, s6
	s_addc_u32 s4, s67, s4
	s_mul_i32 s10, s40, s56
	s_add_u32 s6, s6, s10
	s_mul_hi_u32 s10, s40, s56
	s_addc_u32 s4, s4, s10
	s_mul_i32 s10, s39, s45
	s_add_u32 s6, s6, s10
	s_mul_hi_u32 s10, s39, s45
	;; [unrolled: 4-line block ×3, first 2 shown]
	s_addc_u32 s4, s4, s10
	s_add_u32 s6, s6, s74
	s_mul_hi_u32 s46, s65, s79
	s_mul_i32 s2, s65, s79
	s_mul_hi_u32 s60, s65, s82
	s_mul_i32 s28, s65, s82
	;; [unrolled: 2-line block ×4, first 2 shown]
	s_mov_b32 s31, s65
	s_addc_u32 s4, s4, s75
	s_mul_i32 s65, s8, 0x3d10
	s_add_u32 s6, s6, s65
	s_mul_hi_u32 s65, s8, 0x3d10
	s_addc_u32 s4, s4, s65
	s_add_u32 s72, s6, s72
	s_mov_b32 s9, s25
	s_mul_i32 s10, s64, s81
	s_addc_u32 s73, s4, s73
	s_mul_hi_u32 s4, s64, s80
	s_mul_i32 s6, s64, s80
	s_mul_i32 s65, s66, s42
	s_add_i32 s4, s4, s10
	s_and_b32 s94, s72, 0x3ffffff
	s_lshl_b64 s[8:9], s[8:9], 10
	s_lshr_b64 s[76:77], s[72:73], 26
	s_add_u32 s6, s65, s6
	s_mul_hi_u32 s10, s66, s42
	s_addc_u32 s4, s10, s4
	s_mul_i32 s10, s36, s33
	s_add_u32 s6, s6, s10
	s_mul_hi_u32 s10, s36, s33
	s_addc_u32 s4, s4, s10
	s_mul_i32 s10, s24, s19
	s_add_u32 s6, s6, s10
	s_mul_hi_u32 s10, s24, s19
	s_addc_u32 s4, s4, s10
	s_add_u32 s26, s6, s26
	s_addc_u32 s27, s4, s27
	s_and_b32 s10, s26, 0x3ffffff
	s_lshr_b64 s[26:27], s[26:27], 26
	s_add_u32 s2, s2, s44
	s_mul_i32 s3, s63, s41
	s_addc_u32 s6, s46, s18
	s_mul_hi_u32 s29, s63, s41
	s_add_u32 s2, s2, s3
	s_addc_u32 s3, s6, s29
	s_mul_i32 s6, s40, s22
	s_add_u32 s2, s2, s6
	s_mul_hi_u32 s6, s40, s22
	s_addc_u32 s3, s3, s6
	s_mul_i32 s6, s39, s56
	s_add_u32 s2, s2, s6
	s_mul_hi_u32 s6, s39, s56
	;; [unrolled: 4-line block ×3, first 2 shown]
	s_addc_u32 s3, s3, s6
	s_add_u32 s2, s2, s8
	s_addc_u32 s3, s3, s9
	s_mul_i32 s8, s10, 0x3d10
	s_add_u32 s2, s2, s8
	s_mul_hi_u32 s8, s10, 0x3d10
	s_addc_u32 s3, s3, s8
	s_add_u32 s2, s2, s76
	s_mov_b32 s11, s25
	s_mul_i32 s6, s66, s81
	s_addc_u32 s3, s3, s77
	s_mul_hi_u32 s8, s66, s80
	s_mul_hi_u32 s72, s63, s45
	s_mul_i32 s18, s63, s45
	s_mul_i32 s9, s66, s80
	;; [unrolled: 1-line block ×3, first 2 shown]
	s_add_i32 s8, s8, s6
	s_and_b32 s95, s2, 0x3ffffff
	s_lshl_b64 s[10:11], s[10:11], 10
	s_lshr_b64 s[2:3], s[2:3], 26
	s_add_u32 s6, s45, s9
	s_mul_hi_u32 s9, s36, s42
	s_addc_u32 s8, s9, s8
	s_mul_i32 s9, s24, s33
	s_add_u32 s6, s6, s9
	s_mul_hi_u32 s9, s24, s33
	s_addc_u32 s9, s8, s9
	s_add_u32 s8, s6, s26
	s_addc_u32 s9, s9, s27
	s_and_b32 s6, s8, 0x3ffffff
	s_lshr_b64 s[8:9], s[8:9], 26
	s_add_u32 s23, s28, s23
	s_mul_i32 s4, s63, s79
	s_addc_u32 s20, s60, s20
	s_mul_hi_u32 s78, s63, s79
	s_add_u32 s4, s23, s4
	s_mul_i32 s29, s64, s41
	s_addc_u32 s20, s20, s78
	s_mul_hi_u32 s73, s63, s82
	s_mul_i32 s74, s63, s82
	s_mov_b32 s44, s63
	s_mul_hi_u32 s63, s64, s41
	s_add_u32 s4, s4, s29
	s_addc_u32 s20, s20, s63
	s_mul_i32 s28, s40, s19
	s_add_u32 s4, s4, s28
	s_mul_hi_u32 s28, s40, s19
	s_addc_u32 s20, s20, s28
	s_mul_i32 s28, s39, s22
	s_add_u32 s4, s4, s28
	s_mul_hi_u32 s28, s39, s22
	;; [unrolled: 4-line block ×3, first 2 shown]
	s_addc_u32 s20, s20, s28
	s_add_u32 s4, s4, s10
	s_addc_u32 s10, s20, s11
	s_mul_i32 s28, s6, 0x3d10
	s_add_u32 s4, s4, s28
	s_mul_hi_u32 s28, s6, 0x3d10
	s_addc_u32 s10, s10, s28
	s_add_u32 s2, s4, s2
	s_mov_b32 s7, s25
	s_mul_i32 s60, s36, s81
	s_mul_hi_u32 s23, s36, s80
	s_addc_u32 s3, s10, s3
	s_mul_hi_u32 s65, s64, s82
	s_mul_i32 s67, s64, s82
	s_mul_hi_u32 s75, s64, s79
	s_mul_i32 s26, s64, s79
	s_mov_b32 s45, s64
	s_mul_hi_u32 s27, s66, s41
	s_mul_i32 s64, s66, s41
	s_mul_hi_u32 s76, s66, s79
	s_mul_i32 s77, s66, s79
	s_mov_b32 s46, s66
	s_mul_i32 s66, s36, s80
	s_mul_i32 s63, s24, s42
	s_mul_i32 s11, s24, s81
	s_add_i32 s23, s23, s60
	s_and_b32 s81, s2, 0x3ffffff
	s_lshl_b64 s[6:7], s[6:7], 10
	s_lshr_b64 s[2:3], s[2:3], 26
	s_mul_hi_u32 s56, s24, s42
	s_add_u32 s4, s63, s66
	s_addc_u32 s23, s56, s23
	s_add_u32 s8, s4, s8
	s_addc_u32 s9, s23, s9
	s_and_b32 s4, s8, 0x3ffffff
	s_lshr_b64 s[8:9], s[8:9], 26
	s_add_u32 s16, s61, s16
	s_addc_u32 s0, s15, s0
	s_add_u32 s16, s16, s74
	s_addc_u32 s0, s0, s73
	;; [unrolled: 2-line block ×3, first 2 shown]
	s_add_u32 s16, s16, s64
	s_mul_hi_u32 s20, s24, s80
	s_mul_i32 s80, s24, s80
	s_mov_b64 s[28:29], s[24:25]
	s_mul_i32 s24, s40, s33
	s_addc_u32 s0, s0, s27
	s_mul_hi_u32 s10, s40, s33
	s_add_u32 s16, s16, s24
	s_mul_i32 s63, s39, s19
	s_addc_u32 s0, s0, s10
	s_mul_hi_u32 s60, s39, s19
	s_add_u32 s10, s16, s63
	s_mul_hi_u32 s15, s38, s22
	s_mul_i32 s22, s38, s22
	s_addc_u32 s0, s0, s60
	s_add_u32 s10, s10, s22
	s_addc_u32 s0, s0, s15
	s_add_u32 s6, s10, s6
	s_mul_i32 s26, s4, 0x3d10
	s_addc_u32 s0, s0, s7
	s_mul_hi_u32 s73, s4, 0x3d10
	s_add_u32 s6, s6, s26
	s_addc_u32 s0, s0, s73
	s_add_u32 s2, s6, s2
	s_mov_b32 s5, s25
	s_addc_u32 s3, s0, s3
	s_and_b32 s60, s2, 0x3ffffff
	s_lshl_b64 s[4:5], s[4:5], 10
	s_add_i32 s20, s20, s11
	s_lshr_b64 s[2:3], s[2:3], 26
	s_add_u32 s6, s8, s80
	s_addc_u32 s7, s9, s20
	s_and_b32 s0, s6, 0x3ffffff
	s_lshr_b64 s[8:9], s[6:7], 26
	s_add_u32 s11, s13, s59
	s_addc_u32 s12, s12, s17
	s_add_u32 s11, s11, s18
	s_addc_u32 s12, s12, s72
	;; [unrolled: 2-line block ×3, first 2 shown]
	s_add_u32 s11, s11, s77
	s_mul_i32 s79, s36, s41
	s_addc_u32 s12, s12, s76
	s_mul_hi_u32 s78, s36, s41
	s_add_u32 s11, s11, s79
	s_mul_i32 s56, s40, s42
	s_addc_u32 s12, s12, s78
	s_mul_hi_u32 s23, s40, s42
	s_add_u32 s11, s11, s56
	s_mul_hi_u32 s61, s39, s33
	s_mul_i32 s33, s39, s33
	s_addc_u32 s12, s12, s23
	s_add_u32 s11, s11, s33
	s_mul_hi_u32 s66, s38, s19
	s_mul_i32 s19, s38, s19
	s_addc_u32 s12, s12, s61
	s_add_u32 s11, s11, s19
	s_addc_u32 s12, s12, s66
	s_add_u32 s4, s11, s4
	s_mul_i32 s10, s0, 0x3d10
	s_addc_u32 s5, s12, s5
	v_mov_b32_e32 v0, s6
	s_mul_hi_u32 s6, s0, 0x3d10
	s_add_u32 s4, s4, s10
	s_addc_u32 s5, s5, s6
	v_alignbit_b32 v0, s7, v0, 26
	s_add_u32 s2, s4, s2
	v_readfirstlane_b32 s13, v0
	s_addc_u32 s3, s5, s3
	s_lshr_b32 s4, s7, 26
	s_mov_b32 s1, s25
	s_mul_i32 s15, s13, 0x3d10
	s_mul_hi_u32 s13, s13, 0x3d10
	s_mulk_i32 s4, 0x3d10
	s_and_b32 s84, s2, 0x3ffffff
	s_lshl_b64 s[0:1], s[0:1], 10
	s_lshr_b64 s[2:3], s[2:3], 26
	s_add_i32 s13, s13, s4
	s_add_u32 s4, s15, s21
	s_addc_u32 s5, s13, 0
	s_add_u32 s0, s4, s0
	s_addc_u32 s1, s5, s1
	;; [unrolled: 2-line block ×3, first 2 shown]
	s_and_b32 s64, s0, 0x3fffff
	s_lshl_b64 s[2:3], s[8:9], 14
	s_lshr_b64 s[0:1], s[0:1], 22
	s_add_u32 s0, s0, s2
	s_addc_u32 s1, s1, s3
	s_mul_hi_u32 s2, s0, 0x3d1
	s_mul_i32 s4, s1, 0x3d1
	s_mul_i32 s3, s0, 0x3d1
	s_add_i32 s4, s2, s4
	s_add_u32 s2, s3, s57
	s_addc_u32 s3, s4, 0
	s_and_b32 s88, s2, 0x3ffffff
	s_lshl_b64 s[0:1], s[0:1], 6
	s_lshr_b64 s[2:3], s[2:3], 26
	s_add_u32 s0, s0, s58
	s_addc_u32 s1, s1, 0
	s_add_u32 s0, s0, s2
	s_addc_u32 s1, s1, s3
	s_and_b32 s56, s0, 0x3ffffff
	s_lshr_b64 s[0:1], s[0:1], 26
	v_readlane_b32 s4, v14, 7
	s_add_u32 s58, s0, s14
	v_readlane_b32 s5, v14, 8
	s_add_u32 s4, s4, 64
	s_addc_u32 s5, s5, 0
	s_cmpk_eq_i32 s4, 0x7fc0
	s_mov_b32 s65, s25
	v_readlane_b32 s83, v15, 19
	s_cbranch_scc0 .LBB0_1
; %bb.2:
	s_lshl_b32 s9, s93, 1
	s_lshl_b32 s16, s94, 1
	;; [unrolled: 1-line block ×5, first 2 shown]
	s_mul_i32 s12, s81, s9
	s_mul_i32 s14, s95, s16
	s_mul_hi_u32 s11, s81, s9
	s_mul_hi_u32 s13, s95, s16
	s_add_u32 s12, s12, s14
	s_mul_i32 s10, s8, s60
	s_addc_u32 s11, s11, s13
	s_mul_hi_u32 s7, s8, s60
	s_add_u32 s10, s12, s10
	s_mul_i32 s6, s84, s4
	s_addc_u32 s7, s11, s7
	;; [unrolled: 4-line block ×3, first 2 shown]
	s_mul_hi_u32 s0, s64, s1
	s_add_u32 s6, s6, s2
	s_addc_u32 s7, s5, s0
	s_and_b32 s0, s6, 0x3ffffff
	s_lshr_b64 s[6:7], s[6:7], 26
	s_mul_i32 s18, s81, s16
	s_mul_i32 s20, s95, s95
	s_mul_hi_u32 s17, s81, s16
	s_mul_hi_u32 s19, s95, s95
	s_add_u32 s18, s18, s20
	s_mul_i32 s15, s60, s9
	s_addc_u32 s17, s17, s19
	s_mul_hi_u32 s14, s60, s9
	s_add_u32 s15, s18, s15
	s_mul_i32 s13, s8, s84
	s_addc_u32 s14, s17, s14
	;; [unrolled: 4-line block ×3, first 2 shown]
	s_mul_hi_u32 s2, s64, s4
	s_add_u32 s11, s13, s11
	s_addc_u32 s2, s12, s2
	s_add_u32 s6, s11, s6
	s_addc_u32 s7, s2, s7
	s_and_b32 s2, s6, 0x3ffffff
	s_mul_i32 s10, s88, s88
	s_lshr_b64 s[6:7], s[6:7], 26
	s_mul_i32 s12, s2, 0x3d10
	s_mul_hi_u32 s5, s88, s88
	s_mul_hi_u32 s11, s2, 0x3d10
	s_add_u32 s10, s12, s10
	s_mov_b32 s3, 0
	s_addc_u32 s11, s11, s5
	s_lshl_b32 s22, s95, 1
	s_and_b32 s5, s10, 0x3fffffd
	s_lshr_b64 s[10:11], s[10:11], 26
	s_lshl_b64 s[12:13], s[2:3], 10
	s_mul_i32 s21, s60, s16
	s_mul_i32 s24, s81, s22
	s_mul_hi_u32 s20, s60, s16
	s_mul_hi_u32 s23, s81, s22
	s_add_u32 s21, s21, s24
	s_mul_i32 s19, s84, s9
	s_addc_u32 s20, s20, s23
	s_mul_hi_u32 s18, s84, s9
	s_add_u32 s19, s21, s19
	s_mul_i32 s17, s8, s64
	s_addc_u32 s18, s20, s18
	s_mul_hi_u32 s2, s8, s64
	s_add_u32 s17, s19, s17
	s_addc_u32 s2, s18, s2
	s_add_u32 s6, s17, s6
	s_addc_u32 s7, s2, s7
	s_mul_i32 s15, s56, s1
	s_and_b32 s2, s6, 0x3ffffff
	s_lshr_b64 s[6:7], s[6:7], 26
	s_mul_hi_u32 s14, s56, s1
	s_add_u32 s12, s12, s15
	s_addc_u32 s13, s13, s14
	s_add_u32 s10, s12, s10
	s_mul_i32 s18, s2, 0x3d10
	s_addc_u32 s11, s13, s11
	s_mul_hi_u32 s17, s2, 0x3d10
	s_add_u32 s12, s10, s18
	s_addc_u32 s13, s11, s17
	s_and_b32 s10, s12, 0x3ffffff
	s_lshr_b64 s[12:13], s[12:13], 26
	s_lshl_b64 s[14:15], s[2:3], 10
	s_mul_i32 s25, s60, s22
	s_mul_i32 s27, s81, s81
	s_mul_hi_u32 s24, s60, s22
	s_mul_hi_u32 s26, s81, s81
	s_add_u32 s25, s25, s27
	s_mul_i32 s23, s84, s16
	s_addc_u32 s24, s24, s26
	s_mul_hi_u32 s21, s84, s16
	s_add_u32 s23, s25, s23
	s_mul_i32 s20, s64, s9
	s_addc_u32 s21, s24, s21
	s_mul_hi_u32 s2, s64, s9
	s_add_u32 s20, s23, s20
	s_addc_u32 s2, s21, s2
	s_add_u32 s6, s20, s6
	s_addc_u32 s7, s2, s7
	s_mul_i32 s17, s58, s1
	s_mul_i32 s19, s56, s56
	s_and_b32 s2, s6, 0x3ffffff
	s_lshr_b64 s[6:7], s[6:7], 26
	s_mul_hi_u32 s11, s58, s1
	s_mul_hi_u32 s18, s56, s56
	s_add_u32 s17, s17, s19
	s_addc_u32 s11, s11, s18
	s_add_u32 s14, s17, s14
	s_mul_i32 s21, s2, 0x3d10
	s_addc_u32 s11, s11, s15
	s_mul_hi_u32 s20, s2, 0x3d10
	s_add_u32 s14, s14, s21
	s_addc_u32 s11, s11, s20
	s_add_u32 s12, s14, s12
	s_addc_u32 s13, s11, s13
	s_lshl_b32 s24, s81, 1
	s_and_b32 s11, s12, 0x3ffffff
	s_lshr_b64 s[12:13], s[12:13], 26
	s_lshl_b64 s[14:15], s[2:3], 10
	s_mul_i32 s23, s84, s22
	s_mul_i32 s26, s60, s24
	s_mul_hi_u32 s17, s84, s22
	s_mul_hi_u32 s25, s60, s24
	s_add_u32 s23, s23, s26
	s_mul_hi_u32 s2, s64, s16
	s_mul_i32 s16, s64, s16
	s_addc_u32 s17, s17, s25
	s_add_u32 s16, s23, s16
	s_addc_u32 s2, s17, s2
	s_add_u32 s6, s16, s6
	s_addc_u32 s7, s2, s7
	s_mul_i32 s19, s93, s1
	s_mul_i32 s21, s58, s4
	s_and_b32 s2, s6, 0x3ffffff
	s_lshr_b64 s[16:17], s[6:7], 26
	s_mul_hi_u32 s18, s93, s1
	s_mul_hi_u32 s20, s58, s4
	s_add_u32 s19, s19, s21
	s_addc_u32 s18, s18, s20
	s_add_u32 s14, s19, s14
	s_mul_i32 s7, s2, 0x3d10
	s_addc_u32 s15, s18, s15
	s_mul_hi_u32 s6, s2, 0x3d10
	s_add_u32 s7, s14, s7
	s_addc_u32 s6, s15, s6
	s_add_u32 s12, s7, s12
	s_addc_u32 s13, s6, s13
	s_and_b32 s6, s12, 0x3ffffff
	s_lshr_b64 s[12:13], s[12:13], 26
	s_lshl_b64 s[14:15], s[2:3], 10
	s_mul_i32 s26, s84, s24
	s_mul_i32 s28, s60, s60
	s_mul_hi_u32 s25, s84, s24
	s_mul_hi_u32 s27, s60, s60
	s_add_u32 s26, s26, s28
	s_mul_hi_u32 s2, s64, s22
	s_mul_i32 s22, s64, s22
	s_addc_u32 s25, s25, s27
	s_add_u32 s22, s26, s22
	s_addc_u32 s2, s25, s2
	s_add_u32 s16, s22, s16
	s_addc_u32 s17, s2, s17
	s_mul_i32 s20, s93, s4
	s_mul_i32 s23, s58, s58
	s_and_b32 s2, s16, 0x3ffffff
	s_lshr_b64 s[16:17], s[16:17], 26
	s_mul_hi_u32 s19, s93, s4
	s_mul_hi_u32 s21, s58, s58
	s_add_u32 s20, s20, s23
	s_mul_i32 s18, s94, s1
	s_addc_u32 s19, s19, s21
	s_mul_hi_u32 s7, s94, s1
	s_add_u32 s18, s20, s18
	s_addc_u32 s7, s19, s7
	s_add_u32 s14, s18, s14
	s_mul_i32 s25, s2, 0x3d10
	s_addc_u32 s7, s7, s15
	s_mul_hi_u32 s22, s2, 0x3d10
	s_add_u32 s14, s14, s25
	s_addc_u32 s7, s7, s22
	s_add_u32 s12, s14, s12
	s_addc_u32 s13, s7, s13
	s_lshl_b32 s25, s60, 1
	s_and_b32 s7, s12, 0x3ffffff
	s_lshr_b64 s[12:13], s[12:13], 26
	s_lshl_b64 s[14:15], s[2:3], 10
	s_mul_hi_u32 s2, s64, s24
	s_mul_i32 s24, s64, s24
	s_mul_i32 s27, s84, s25
	s_mul_hi_u32 s26, s84, s25
	s_add_u32 s24, s24, s27
	s_addc_u32 s2, s2, s26
	s_add_u32 s16, s24, s16
	s_addc_u32 s17, s2, s17
	s_mul_i32 s21, s94, s4
	s_mul_i32 s23, s8, s93
	s_and_b32 s2, s16, 0x3ffffff
	s_lshr_b64 s[16:17], s[16:17], 26
	s_mul_hi_u32 s20, s94, s4
	s_mul_hi_u32 s22, s8, s93
	s_add_u32 s21, s21, s23
	s_mul_i32 s19, s95, s1
	s_addc_u32 s20, s20, s22
	s_mul_hi_u32 s18, s95, s1
	s_add_u32 s19, s21, s19
	s_addc_u32 s18, s20, s18
	s_add_u32 s14, s19, s14
	s_mul_i32 s26, s2, 0x3d10
	s_addc_u32 s15, s18, s15
	s_mul_hi_u32 s24, s2, 0x3d10
	s_add_u32 s14, s14, s26
	s_addc_u32 s15, s15, s24
	s_add_u32 s12, s14, s12
	s_addc_u32 s13, s15, s13
	s_and_b32 s14, s12, 0x3ffffff
	s_lshr_b64 s[12:13], s[12:13], 26
	s_lshl_b64 s[18:19], s[2:3], 10
	s_mul_hi_u32 s2, s64, s25
	s_mul_i32 s25, s64, s25
	s_mul_i32 s29, s84, s84
	s_mul_hi_u32 s28, s84, s84
	s_add_u32 s25, s25, s29
	s_addc_u32 s2, s2, s28
	s_add_u32 s16, s25, s16
	s_addc_u32 s17, s2, s17
	s_mul_i32 s24, s8, s94
	s_mul_i32 s27, s93, s93
	s_and_b32 s2, s16, 0x3ffffff
	s_lshr_b64 s[16:17], s[16:17], 26
	s_mul_hi_u32 s23, s8, s94
	s_mul_hi_u32 s26, s93, s93
	s_add_u32 s24, s24, s27
	s_mul_i32 s22, s95, s4
	s_addc_u32 s23, s23, s26
	s_mul_hi_u32 s21, s95, s4
	s_add_u32 s22, s24, s22
	s_mul_i32 s20, s81, s1
	s_addc_u32 s21, s23, s21
	s_mul_hi_u32 s15, s81, s1
	s_add_u32 s20, s22, s20
	s_addc_u32 s15, s21, s15
	s_add_u32 s18, s20, s18
	s_mul_i32 s28, s2, 0x3d10
	s_addc_u32 s15, s15, s19
	s_mul_hi_u32 s25, s2, 0x3d10
	s_add_u32 s18, s18, s28
	s_addc_u32 s15, s15, s25
	s_add_u32 s12, s18, s12
	s_addc_u32 s13, s15, s13
	s_lshl_b64 s[18:19], s[2:3], 10
	s_lshl_b32 s2, s84, 1
	s_and_b32 s15, s12, 0x3ffffff
	s_lshr_b64 s[12:13], s[12:13], 26
	s_mul_hi_u32 s20, s64, s2
	s_mul_i32 s2, s64, s2
	s_add_u32 s16, s16, s2
	s_addc_u32 s17, s17, s20
	s_mul_i32 s27, s8, s95
	s_mul_i32 s29, s94, s9
	s_and_b32 s2, s16, 0x3ffffff
	s_lshr_b64 s[20:21], s[16:17], 26
	s_mul_hi_u32 s26, s8, s95
	s_mul_hi_u32 s28, s94, s9
	s_add_u32 s27, s27, s29
	s_mul_i32 s25, s81, s4
	s_addc_u32 s26, s26, s28
	s_mul_hi_u32 s24, s81, s4
	s_add_u32 s25, s27, s25
	s_mul_i32 s23, s60, s1
	s_addc_u32 s24, s26, s24
	s_mul_hi_u32 s22, s60, s1
	s_add_u32 s23, s25, s23
	s_addc_u32 s22, s24, s22
	s_add_u32 s18, s23, s18
	s_mul_i32 s17, s2, 0x3d10
	s_addc_u32 s19, s22, s19
	s_mul_hi_u32 s16, s2, 0x3d10
	s_add_u32 s17, s18, s17
	s_addc_u32 s16, s19, s16
	s_add_u32 s12, s17, s12
	s_addc_u32 s13, s16, s13
	s_and_b32 s16, s12, 0x3ffffff
	s_lshr_b64 s[12:13], s[12:13], 26
	s_lshl_b64 s[18:19], s[2:3], 10
	s_mul_hi_u32 s23, s8, s81
	s_mul_i32 s24, s8, s81
	s_mul_i32 s8, s64, s64
	s_mul_hi_u32 s2, s64, s64
	s_add_u32 s8, s20, s8
	s_mul_hi_u32 s25, s95, s9
	s_mul_i32 s26, s95, s9
	s_addc_u32 s9, s21, s2
	s_mul_i32 s28, s94, s94
	s_and_b32 s2, s8, 0x3ffffff
	s_lshr_b64 s[20:21], s[8:9], 26
	s_mul_hi_u32 s27, s94, s94
	s_add_u32 s26, s26, s28
	s_addc_u32 s25, s25, s27
	s_add_u32 s24, s26, s24
	s_mul_hi_u32 s22, s60, s4
	s_mul_i32 s4, s60, s4
	s_addc_u32 s23, s25, s23
	s_add_u32 s4, s24, s4
	s_mul_hi_u32 s17, s84, s1
	s_mul_i32 s1, s84, s1
	s_addc_u32 s22, s23, s22
	s_add_u32 s1, s4, s1
	s_addc_u32 s4, s22, s17
	s_add_u32 s1, s1, s18
	s_mul_i32 s30, s2, 0x3d10
	s_addc_u32 s4, s4, s19
	s_mul_hi_u32 s29, s2, 0x3d10
	s_add_u32 s1, s1, s30
	s_addc_u32 s4, s4, s29
	v_mov_b32_e32 v0, s8
	s_add_u32 s12, s1, s12
	v_alignbit_b32 v0, s9, v0, 26
	s_addc_u32 s13, s4, s13
	v_readfirstlane_b32 s1, v0
	s_and_b32 s17, s12, 0x3ffffff
	s_lshr_b64 s[12:13], s[12:13], 26
	s_lshl_b64 s[18:19], s[2:3], 10
	s_mul_hi_u32 s2, s1, 0x3d10
	s_mulk_i32 s1, 0x3d10
	s_add_u32 s0, s1, s0
	s_addc_u32 s1, s2, 0
	s_add_u32 s0, s0, s18
	s_addc_u32 s1, s1, s19
	;; [unrolled: 2-line block ×3, first 2 shown]
	s_and_b32 s18, s0, 0x3fffff
	s_lshr_b64 s[0:1], s[0:1], 22
	s_lshl_b64 s[8:9], s[20:21], 14
	s_add_u32 s0, s0, s8
	s_addc_u32 s1, s1, s9
	s_mul_i32 s2, s1, 0x3d1
	s_mul_hi_u32 s4, s0, 0x3d1
	s_add_i32 s2, s4, s2
	s_mul_i32 s4, s0, 0x3d1
	s_add_u32 s4, s4, s5
	s_addc_u32 s5, s2, 0
	s_and_b32 s20, s4, 0x3ffffff
	s_lshr_b64 s[4:5], s[4:5], 26
	s_lshl_b64 s[0:1], s[0:1], 6
	s_add_u32 s0, s0, s10
	s_addc_u32 s1, s1, 0
	s_add_u32 s0, s0, s4
	s_addc_u32 s1, s1, s5
	s_and_b32 s22, s0, 0x3ffffff
	s_lshr_b64 s[0:1], s[0:1], 26
	s_add_u32 s21, s0, s11
	s_addc_u32 s23, s1, 0
	s_mul_i32 s5, s23, s60
	s_mul_hi_u32 s8, s21, s60
	s_add_i32 s8, s8, s5
	s_mul_i32 s10, s6, s81
	s_mul_i32 s12, s7, s95
	s_mul_hi_u32 s9, s6, s81
	s_mul_hi_u32 s11, s7, s95
	s_add_u32 s10, s12, s10
	s_mul_i32 s19, s14, s94
	s_addc_u32 s9, s11, s9
	s_mul_hi_u32 s13, s14, s94
	s_add_u32 s10, s10, s19
	s_mul_i32 s25, s15, s93
	s_addc_u32 s9, s9, s13
	;; [unrolled: 4-line block ×8, first 2 shown]
	s_add_u32 s0, s1, s5
	s_addc_u32 s1, s2, s8
	s_mul_i32 s9, s23, s84
	s_mul_hi_u32 s10, s21, s84
	s_and_b32 s19, s0, 0x3ffffff
	s_lshr_b64 s[0:1], s[0:1], 26
	s_add_i32 s10, s10, s9
	s_mul_i32 s12, s6, s60
	s_mul_i32 s24, s7, s81
	s_mul_hi_u32 s11, s6, s60
	s_mul_hi_u32 s13, s7, s81
	s_add_u32 s12, s24, s12
	s_mul_i32 s26, s14, s95
	s_addc_u32 s11, s13, s11
	s_mul_hi_u32 s25, s14, s95
	s_add_u32 s12, s12, s26
	s_mul_i32 s28, s15, s94
	s_addc_u32 s11, s11, s25
	;; [unrolled: 4-line block ×7, first 2 shown]
	s_add_u32 s8, s8, s9
	s_addc_u32 s2, s2, s10
	s_add_u32 s0, s8, s0
	s_addc_u32 s1, s2, s1
	s_and_b32 s2, s0, 0x3ffffff
	s_mul_i32 s4, s20, s88
	s_lshr_b64 s[0:1], s[0:1], 26
	s_mul_i32 s9, s2, 0x3d10
	s_mul_hi_u32 s5, s20, s88
	s_mul_hi_u32 s8, s2, 0x3d10
	s_add_u32 s4, s9, s4
	s_addc_u32 s5, s8, s5
	s_lshl_b64 s[8:9], s[2:3], 10
	s_mul_i32 s2, s23, s64
	s_mul_hi_u32 s25, s21, s64
	s_and_b32 s24, s4, 0x3ffffff
	s_lshr_b64 s[4:5], s[4:5], 26
	s_add_i32 s25, s25, s2
	s_mul_i32 s27, s6, s84
	s_mul_i32 s29, s7, s60
	s_mul_hi_u32 s26, s6, s84
	s_mul_hi_u32 s28, s7, s60
	s_add_u32 s27, s29, s27
	s_mul_i32 s31, s14, s81
	s_addc_u32 s26, s28, s26
	s_mul_hi_u32 s30, s14, s81
	s_add_u32 s27, s27, s31
	s_mul_i32 s34, s15, s95
	s_addc_u32 s26, s26, s30
	s_mul_hi_u32 s33, s15, s95
	s_add_u32 s27, s27, s34
	s_mul_i32 s36, s16, s94
	s_addc_u32 s26, s26, s33
	s_mul_hi_u32 s35, s16, s94
	s_add_u32 s27, s27, s36
	s_mul_i32 s38, s17, s93
	s_addc_u32 s26, s26, s35
	s_mul_hi_u32 s37, s17, s93
	s_add_u32 s27, s27, s38
	s_mul_i32 s40, s18, s58
	s_addc_u32 s26, s26, s37
	s_mul_hi_u32 s39, s18, s58
	s_add_u32 s27, s27, s40
	s_mul_i32 s2, s21, s64
	s_addc_u32 s26, s26, s39
	s_add_u32 s2, s27, s2
	s_addc_u32 s25, s26, s25
	s_add_u32 s0, s2, s0
	s_addc_u32 s1, s25, s1
	s_mul_i32 s11, s20, s56
	s_mul_i32 s13, s22, s88
	s_and_b32 s2, s0, 0x3ffffff
	s_lshr_b64 s[0:1], s[0:1], 26
	s_mul_hi_u32 s10, s20, s56
	s_mul_hi_u32 s12, s22, s88
	s_add_u32 s11, s13, s11
	s_addc_u32 s10, s12, s10
	s_add_u32 s8, s11, s8
	s_addc_u32 s9, s10, s9
	s_add_u32 s4, s8, s4
	s_mul_i32 s26, s2, 0x3d10
	s_addc_u32 s5, s9, s5
	s_mul_hi_u32 s25, s2, 0x3d10
	s_add_u32 s4, s4, s26
	s_addc_u32 s5, s5, s25
	s_lshl_b64 s[8:9], s[2:3], 10
	s_mul_i32 s2, s23, s88
	s_mul_hi_u32 s26, s21, s88
	s_and_b32 s25, s4, 0x3ffffff
	s_lshr_b64 s[4:5], s[4:5], 26
	s_add_i32 s26, s26, s2
	s_mul_i32 s28, s6, s64
	s_mul_i32 s30, s7, s84
	s_mul_hi_u32 s2, s6, s64
	s_mul_hi_u32 s29, s7, s84
	s_add_u32 s28, s30, s28
	s_addc_u32 s2, s29, s2
	s_mul_i32 s30, s14, s60
	s_mul_hi_u32 s29, s14, s60
	s_add_u32 s28, s28, s30
	s_addc_u32 s2, s2, s29
	s_mul_i32 s30, s15, s81
	;; [unrolled: 4-line block ×5, first 2 shown]
	s_mul_hi_u32 s29, s18, s93
	s_add_u32 s28, s28, s30
	s_addc_u32 s2, s2, s29
	s_add_u32 s0, s28, s0
	s_addc_u32 s1, s2, s1
	s_mul_i32 s11, s20, s58
	s_mul_i32 s13, s22, s56
	s_and_b32 s2, s0, 0x3ffffff
	s_lshr_b64 s[0:1], s[0:1], 26
	s_mul_hi_u32 s10, s20, s58
	s_mul_hi_u32 s12, s22, s56
	s_add_u32 s11, s13, s11
	s_mul_i32 s27, s21, s88
	s_addc_u32 s10, s12, s10
	s_add_u32 s11, s11, s27
	s_addc_u32 s10, s10, s26
	s_add_u32 s8, s11, s8
	s_mul_i32 s29, s2, 0x3d10
	s_addc_u32 s9, s10, s9
	s_mul_hi_u32 s28, s2, 0x3d10
	s_add_u32 s8, s8, s29
	s_addc_u32 s9, s9, s28
	s_add_u32 s4, s8, s4
	s_addc_u32 s5, s9, s5
	s_lshl_b64 s[8:9], s[2:3], 10
	s_mul_i32 s2, s23, s56
	s_mul_hi_u32 s10, s21, s56
	s_and_b32 s26, s4, 0x3ffffff
	s_lshr_b64 s[4:5], s[4:5], 26
	s_add_i32 s29, s10, s2
	s_mul_i32 s10, s7, s64
	s_mul_i32 s34, s14, s84
	s_mul_hi_u32 s2, s7, s64
	s_mul_hi_u32 s11, s14, s84
	s_add_u32 s10, s34, s10
	s_addc_u32 s2, s11, s2
	s_mul_i32 s34, s15, s60
	s_mul_hi_u32 s11, s15, s60
	s_add_u32 s10, s10, s34
	s_addc_u32 s2, s2, s11
	s_mul_i32 s34, s16, s81
	;; [unrolled: 4-line block ×4, first 2 shown]
	s_mul_hi_u32 s11, s18, s94
	s_add_u32 s10, s10, s34
	s_addc_u32 s2, s2, s11
	s_add_u32 s0, s10, s0
	s_addc_u32 s1, s2, s1
	s_mul_i32 s13, s20, s93
	s_mul_i32 s33, s6, s88
	s_and_b32 s2, s0, 0x3ffffff
	s_lshr_b64 s[10:11], s[0:1], 26
	s_mul_hi_u32 s12, s20, s93
	s_mul_hi_u32 s31, s6, s88
	s_add_u32 s13, s13, s33
	s_mul_i32 s28, s22, s58
	s_addc_u32 s12, s12, s31
	s_mul_hi_u32 s27, s22, s58
	s_add_u32 s13, s13, s28
	s_mul_i32 s30, s21, s56
	s_addc_u32 s12, s12, s27
	s_add_u32 s13, s13, s30
	s_addc_u32 s12, s12, s29
	s_add_u32 s8, s13, s8
	s_mul_i32 s1, s2, 0x3d10
	s_addc_u32 s9, s12, s9
	s_mul_hi_u32 s0, s2, 0x3d10
	s_add_u32 s1, s8, s1
	s_addc_u32 s8, s9, s0
	s_add_u32 s0, s1, s4
	s_addc_u32 s1, s8, s5
	s_lshl_b64 s[8:9], s[2:3], 10
	s_mul_i32 s2, s23, s58
	s_mul_hi_u32 s28, s21, s58
	s_lshr_b64 s[4:5], s[0:1], 26
	s_add_i32 s28, s28, s2
	s_mul_i32 s35, s14, s64
	s_mul_i32 s37, s15, s84
	s_mul_hi_u32 s2, s14, s64
	s_mul_hi_u32 s36, s15, s84
	s_add_u32 s35, s37, s35
	s_addc_u32 s2, s36, s2
	s_mul_i32 s37, s16, s60
	s_mul_hi_u32 s36, s16, s60
	s_add_u32 s35, s35, s37
	s_addc_u32 s2, s2, s36
	s_mul_i32 s37, s17, s81
	;; [unrolled: 4-line block ×3, first 2 shown]
	s_mul_hi_u32 s36, s18, s95
	s_add_u32 s35, s35, s37
	s_addc_u32 s2, s2, s36
	s_add_u32 s10, s35, s10
	s_addc_u32 s11, s2, s11
	s_mul_i32 s31, s6, s56
	s_mul_i32 s34, s7, s88
	s_and_b32 s2, s10, 0x3ffffff
	s_lshr_b64 s[10:11], s[10:11], 26
	s_mul_hi_u32 s30, s6, s56
	s_mul_hi_u32 s33, s7, s88
	s_add_u32 s31, s34, s31
	s_mul_i32 s12, s20, s94
	s_addc_u32 s30, s33, s30
	s_mul_hi_u32 s1, s20, s94
	s_add_u32 s12, s31, s12
	s_mul_i32 s27, s22, s93
	s_addc_u32 s1, s30, s1
	;; [unrolled: 4-line block ×3, first 2 shown]
	s_add_u32 s12, s12, s29
	s_addc_u32 s1, s1, s28
	s_add_u32 s8, s12, s8
	s_mul_i32 s36, s2, 0x3d10
	s_addc_u32 s1, s1, s9
	s_mul_hi_u32 s35, s2, 0x3d10
	s_add_u32 s8, s8, s36
	s_addc_u32 s1, s1, s35
	s_add_u32 s4, s8, s4
	s_addc_u32 s5, s1, s5
	s_lshl_b64 s[12:13], s[2:3], 10
	s_mul_i32 s2, s23, s93
	s_mul_hi_u32 s29, s21, s93
	s_lshr_b64 s[8:9], s[4:5], 26
	s_add_i32 s29, s29, s2
	s_mul_i32 s38, s15, s64
	s_mul_i32 s40, s16, s84
	s_mul_hi_u32 s2, s15, s64
	s_mul_hi_u32 s39, s16, s84
	s_add_u32 s38, s40, s38
	s_addc_u32 s2, s39, s2
	s_mul_i32 s40, s17, s60
	s_mul_hi_u32 s39, s17, s60
	s_add_u32 s38, s38, s40
	s_addc_u32 s2, s2, s39
	s_mul_i32 s40, s18, s81
	s_mul_hi_u32 s39, s18, s81
	s_add_u32 s38, s38, s40
	s_addc_u32 s2, s2, s39
	s_add_u32 s10, s38, s10
	s_addc_u32 s11, s2, s11
	s_mul_i32 s33, s6, s58
	s_mul_i32 s35, s7, s56
	s_and_b32 s2, s10, 0x3ffffff
	s_lshr_b64 s[10:11], s[10:11], 26
	s_mul_hi_u32 s31, s6, s58
	s_mul_hi_u32 s34, s7, s56
	s_add_u32 s33, s35, s33
	s_mul_i32 s37, s14, s88
	s_addc_u32 s31, s34, s31
	s_mul_hi_u32 s36, s14, s88
	s_add_u32 s33, s33, s37
	s_mul_i32 s5, s20, s95
	s_addc_u32 s31, s31, s36
	;; [unrolled: 4-line block ×4, first 2 shown]
	s_add_u32 s5, s5, s30
	s_addc_u32 s1, s1, s29
	s_add_u32 s5, s5, s12
	s_mul_i32 s39, s2, 0x3d10
	s_addc_u32 s1, s1, s13
	s_mul_hi_u32 s38, s2, 0x3d10
	s_add_u32 s5, s5, s39
	s_addc_u32 s1, s1, s38
	s_add_u32 s12, s5, s8
	s_addc_u32 s13, s1, s9
	s_lshl_b64 s[28:29], s[2:3], 10
	s_mul_i32 s2, s23, s94
	s_mul_hi_u32 s30, s21, s94
	s_lshr_b64 s[8:9], s[12:13], 26
	s_add_i32 s33, s30, s2
	s_mul_i32 s30, s16, s64
	s_mul_i32 s43, s17, s84
	s_mul_hi_u32 s2, s16, s64
	s_mul_hi_u32 s31, s17, s84
	s_add_u32 s30, s43, s30
	s_addc_u32 s2, s31, s2
	s_mul_i32 s43, s18, s60
	s_mul_hi_u32 s31, s18, s60
	s_add_u32 s30, s30, s43
	s_addc_u32 s2, s2, s31
	s_add_u32 s10, s30, s10
	s_addc_u32 s11, s2, s11
	s_mul_i32 s36, s6, s93
	s_mul_i32 s38, s7, s58
	s_and_b32 s2, s10, 0x3ffffff
	s_lshr_b64 s[30:31], s[10:11], 26
	s_mul_hi_u32 s35, s6, s93
	s_mul_hi_u32 s37, s7, s58
	s_add_u32 s36, s38, s36
	s_mul_i32 s40, s14, s56
	s_addc_u32 s35, s37, s35
	s_mul_hi_u32 s39, s14, s56
	s_add_u32 s36, s36, s40
	s_mul_i32 s42, s15, s88
	s_addc_u32 s35, s35, s39
	s_mul_hi_u32 s41, s15, s88
	s_add_u32 s36, s36, s42
	s_mul_i32 s5, s20, s81
	s_addc_u32 s35, s35, s41
	s_mul_hi_u32 s1, s20, s81
	s_add_u32 s5, s36, s5
	s_mul_i32 s27, s22, s95
	s_addc_u32 s1, s35, s1
	s_mul_hi_u32 s13, s22, s95
	s_add_u32 s5, s5, s27
	s_mul_i32 s34, s21, s94
	s_addc_u32 s1, s1, s13
	s_add_u32 s5, s5, s34
	s_addc_u32 s1, s1, s33
	s_add_u32 s5, s5, s28
	s_mul_i32 s11, s2, 0x3d10
	s_addc_u32 s1, s1, s29
	s_mul_hi_u32 s10, s2, 0x3d10
	s_add_u32 s5, s5, s11
	s_addc_u32 s1, s1, s10
	s_add_u32 s10, s5, s8
	s_addc_u32 s11, s1, s9
	s_lshl_b64 s[28:29], s[2:3], 10
	s_mul_i32 s2, s23, s95
	s_mul_hi_u32 s27, s21, s95
	s_lshr_b64 s[8:9], s[10:11], 26
	s_add_i32 s27, s27, s2
	s_mul_i32 s44, s17, s64
	s_mul_i32 s46, s18, s84
	s_mul_hi_u32 s2, s17, s64
	s_mul_hi_u32 s45, s18, s84
	s_add_u32 s44, s46, s44
	s_addc_u32 s2, s45, s2
	s_add_u32 s30, s44, s30
	s_addc_u32 s31, s2, s31
	s_mul_i32 s35, s6, s94
	s_mul_i32 s37, s7, s93
	s_and_b32 s2, s30, 0x3ffffff
	s_lshr_b64 s[30:31], s[30:31], 26
	s_mul_hi_u32 s34, s6, s94
	s_mul_hi_u32 s36, s7, s93
	s_add_u32 s35, s37, s35
	s_mul_i32 s39, s14, s58
	s_addc_u32 s34, s36, s34
	s_mul_hi_u32 s38, s14, s58
	s_add_u32 s35, s35, s39
	s_mul_i32 s41, s15, s56
	s_addc_u32 s34, s34, s38
	;; [unrolled: 4-line block ×6, first 2 shown]
	s_add_u32 s5, s5, s33
	s_addc_u32 s1, s1, s27
	s_add_u32 s5, s5, s28
	s_mul_i32 s45, s2, 0x3d10
	s_addc_u32 s1, s1, s29
	s_mul_hi_u32 s44, s2, 0x3d10
	s_add_u32 s5, s5, s45
	s_addc_u32 s1, s1, s44
	s_add_u32 s8, s5, s8
	s_addc_u32 s9, s1, s9
	s_lshl_b64 s[34:35], s[2:3], 10
	s_mul_i32 s23, s23, s81
	s_mul_hi_u32 s2, s21, s81
	s_lshr_b64 s[28:29], s[8:9], 26
	s_add_i32 s9, s2, s23
	s_mul_hi_u32 s2, s18, s64
	s_mul_i32 s18, s18, s64
	s_mul_hi_u32 s23, s14, s93
	s_mul_i32 s27, s14, s93
	s_add_u32 s14, s30, s18
	s_mul_hi_u32 s33, s15, s58
	s_mul_i32 s36, s15, s58
	s_addc_u32 s15, s31, s2
	s_mul_hi_u32 s11, s6, s95
	s_mul_i32 s6, s6, s95
	s_mul_hi_u32 s13, s7, s94
	s_mul_i32 s7, s7, s94
	;; [unrolled: 2-line block ×4, first 2 shown]
	s_and_b32 s2, s14, 0x3ffffff
	s_lshr_b64 s[16:17], s[14:15], 26
	s_add_u32 s6, s7, s6
	s_addc_u32 s7, s13, s11
	s_add_u32 s6, s6, s27
	s_addc_u32 s7, s7, s23
	;; [unrolled: 2-line block ×4, first 2 shown]
	s_add_u32 s6, s6, s40
	s_mul_hi_u32 s1, s20, s84
	s_mul_i32 s20, s20, s84
	s_addc_u32 s7, s7, s39
	s_add_u32 s6, s6, s20
	s_mul_hi_u32 s5, s22, s60
	s_mul_i32 s22, s22, s60
	s_addc_u32 s1, s7, s1
	s_add_u32 s6, s6, s22
	s_mul_i32 s21, s21, s81
	s_addc_u32 s1, s1, s5
	s_add_u32 s5, s6, s21
	s_addc_u32 s1, s1, s9
	s_add_u32 s5, s5, s34
	s_mul_i32 s30, s2, 0x3d10
	s_addc_u32 s1, s1, s35
	s_mul_hi_u32 s18, s2, 0x3d10
	s_add_u32 s5, s5, s30
	s_addc_u32 s1, s1, s18
	v_mov_b32_e32 v0, s14
	s_add_u32 s6, s5, s28
	v_alignbit_b32 v0, s15, v0, 26
	s_addc_u32 s7, s1, s29
	v_readfirstlane_b32 s1, v0
	s_lshr_b64 s[20:21], s[6:7], 26
	s_lshl_b64 s[22:23], s[2:3], 10
	s_mul_hi_u32 s2, s1, 0x3d10
	s_mulk_i32 s1, 0x3d10
	s_add_u32 s1, s1, s19
	s_addc_u32 s2, s2, 0
	s_add_u32 s1, s1, s22
	s_addc_u32 s2, s2, s23
	;; [unrolled: 2-line block ×3, first 2 shown]
	s_and_b32 s34, s14, 0x3fffff
	s_lshr_b64 s[14:15], s[14:15], 22
	s_lshl_b64 s[16:17], s[16:17], 14
	s_add_u32 s14, s14, s16
	s_addc_u32 s15, s15, s17
	s_mul_i32 s1, s15, 0x3d1
	s_mul_hi_u32 s2, s14, 0x3d1
	s_add_i32 s2, s2, s1
	s_mul_i32 s1, s14, 0x3d1
	s_add_u32 s16, s1, s24
	s_addc_u32 s17, s2, 0
	s_lshr_b64 s[18:19], s[16:17], 26
	s_lshl_b64 s[14:15], s[14:15], 6
	s_add_u32 s1, s14, s25
	s_addc_u32 s2, s15, 0
	s_add_u32 s14, s1, s18
	s_addc_u32 s15, s2, s19
	s_lshr_b64 s[18:19], s[14:15], 26
	s_add_u32 s35, s18, s26
	s_addc_u32 s36, s19, 0
	s_lshl_b32 s13, s0, 1
	s_lshl_b32 s21, s4, 1
	;; [unrolled: 1-line block ×4, first 2 shown]
	s_and_b32 s13, s13, 0x7fffffe
	s_and_b32 s39, s10, 0x3ffffff
	;; [unrolled: 1-line block ×7, first 2 shown]
	s_lshl_b32 s11, s35, 1
	s_and_b32 s38, s8, 0x3ffffff
	s_mul_i32 s20, s39, s13
	s_mul_i32 s22, s40, s24
	s_mul_hi_u32 s19, s39, s13
	s_mul_hi_u32 s21, s40, s24
	s_add_u32 s20, s20, s22
	s_mul_i32 s2, s7, s34
	s_addc_u32 s19, s19, s21
	s_mul_hi_u32 s1, s7, s34
	s_add_u32 s2, s20, s2
	s_mul_i32 s15, s9, s37
	s_addc_u32 s1, s19, s1
	;; [unrolled: 4-line block ×3, first 2 shown]
	s_mul_hi_u32 s17, s11, s38
	s_add_u32 s18, s2, s18
	s_addc_u32 s19, s1, s17
	s_and_b32 s5, s18, 0x3fffffe
	s_lshr_b64 s[18:19], s[18:19], 26
	s_and_b32 s2, s16, 0x3ffffff
	s_mul_i32 s25, s39, s24
	s_mul_i32 s27, s40, s40
	s_mul_hi_u32 s23, s39, s24
	s_mul_hi_u32 s26, s40, s40
	s_add_u32 s25, s25, s27
	s_mul_i32 s22, s38, s13
	s_addc_u32 s23, s23, s26
	s_mul_hi_u32 s21, s38, s13
	s_add_u32 s22, s25, s22
	s_mul_i32 s16, s9, s34
	s_addc_u32 s21, s23, s21
	s_mul_hi_u32 s1, s2, s2
	v_writelane_b32 v15, s2, 4
	s_mul_i32 s15, s2, s2
	s_mul_hi_u32 s2, s9, s34
	s_add_u32 s16, s22, s16
	s_mul_i32 s20, s11, s37
	s_addc_u32 s2, s21, s2
	s_mul_hi_u32 s17, s11, s37
	s_add_u32 s16, s16, s20
	s_addc_u32 s2, s2, s17
	s_add_u32 s16, s16, s18
	s_addc_u32 s17, s2, s19
	s_and_b32 s2, s16, 0x3ffffff
	s_lshr_b64 s[16:17], s[16:17], 26
	s_mul_i32 s19, s2, 0x3d10
	s_mul_hi_u32 s18, s2, 0x3d10
	s_add_u32 s20, s19, s15
	s_addc_u32 s21, s18, s1
	s_lshl_b32 s12, s12, 1
	s_and_b32 s28, s12, 0x7fffffe
	s_and_b32 s19, s20, 0x3ffffff
	s_lshr_b64 s[20:21], s[20:21], 26
	s_lshl_b64 s[22:23], s[2:3], 10
	s_and_b32 s30, s14, 0x3ffffff
	s_mul_i32 s27, s38, s24
	s_mul_i32 s29, s39, s28
	s_mul_hi_u32 s26, s38, s24
	s_mul_hi_u32 s12, s39, s28
	s_add_u32 s27, s27, s29
	s_mul_i32 s25, s37, s13
	s_addc_u32 s12, s26, s12
	s_mul_hi_u32 s15, s37, s13
	s_add_u32 s25, s27, s25
	s_mul_i32 s14, s11, s34
	s_addc_u32 s12, s12, s15
	s_mul_hi_u32 s2, s11, s34
	s_add_u32 s14, s25, s14
	s_addc_u32 s2, s12, s2
	s_add_u32 s14, s14, s16
	s_addc_u32 s15, s2, s17
	s_mul_i32 s18, s30, s7
	s_and_b32 s2, s14, 0x3ffffff
	s_lshr_b64 s[14:15], s[14:15], 26
	s_mul_hi_u32 s1, s30, s7
	s_add_u32 s17, s22, s18
	s_addc_u32 s1, s23, s1
	s_add_u32 s17, s17, s20
	s_mul_i32 s16, s2, 0x3d10
	s_addc_u32 s1, s1, s21
	s_mul_hi_u32 s12, s2, 0x3d10
	s_add_u32 s16, s17, s16
	s_addc_u32 s17, s1, s12
	s_lshl_b64 s[20:21], s[2:3], 10
	s_mul_i32 s1, s36, s7
	s_mul_hi_u32 s2, s35, s7
	s_and_b32 s12, s16, 0x3ffffff
	s_lshr_b64 s[16:17], s[16:17], 26
	s_add_i32 s1, s2, s1
	s_mul_hi_u32 s22, s30, s30
	v_writelane_b32 v15, s30, 5
	s_mul_i32 s23, s30, s30
	s_mul_i32 s30, s38, s28
	;; [unrolled: 1-line block ×3, first 2 shown]
	s_mul_hi_u32 s29, s38, s28
	s_mul_hi_u32 s31, s39, s39
	s_add_u32 s30, s30, s33
	s_mul_i32 s27, s37, s24
	s_addc_u32 s29, s29, s31
	s_mul_hi_u32 s26, s37, s24
	s_add_u32 s27, s30, s27
	s_mul_i32 s25, s34, s13
	s_addc_u32 s26, s29, s26
	s_mul_hi_u32 s2, s34, s13
	s_add_u32 s25, s27, s25
	s_addc_u32 s2, s26, s2
	s_add_u32 s14, s25, s14
	s_addc_u32 s15, s2, s15
	s_mul_i32 s18, s35, s7
	s_and_b32 s2, s14, 0x3ffffff
	s_lshr_b64 s[14:15], s[14:15], 26
	s_add_u32 s18, s18, s23
	s_addc_u32 s1, s1, s22
	s_add_u32 s18, s18, s20
	s_mul_i32 s26, s2, 0x3d10
	s_addc_u32 s1, s1, s21
	s_mul_hi_u32 s25, s2, 0x3d10
	s_add_u32 s18, s18, s26
	s_addc_u32 s1, s1, s25
	s_add_u32 s16, s18, s16
	s_addc_u32 s17, s1, s17
	s_lshl_b32 s10, s10, 1
	s_and_b32 s31, s0, 0x3ffffff
	s_mul_i32 s0, s36, s9
	s_mul_hi_u32 s1, s35, s9
	s_and_b32 s10, s10, 0x7fffffe
	s_and_b32 s22, s16, 0x3ffffff
	s_lshr_b64 s[16:17], s[16:17], 26
	s_lshl_b64 s[20:21], s[2:3], 10
	s_add_i32 s25, s1, s0
	s_mul_hi_u32 s0, s34, s24
	s_mul_i32 s1, s34, s24
	s_mul_i32 s24, s37, s28
	;; [unrolled: 1-line block ×3, first 2 shown]
	s_mul_hi_u32 s2, s37, s28
	s_mul_hi_u32 s27, s38, s10
	s_add_u32 s24, s24, s29
	s_addc_u32 s2, s2, s27
	s_add_u32 s1, s24, s1
	s_addc_u32 s2, s2, s0
	;; [unrolled: 2-line block ×3, first 2 shown]
	s_mul_i32 s23, s7, s31
	s_mul_i32 s26, s35, s9
	s_and_b32 s2, s0, 0x3ffffff
	s_lshr_b64 s[14:15], s[0:1], 26
	s_mul_hi_u32 s18, s7, s31
	s_add_u32 s23, s26, s23
	s_addc_u32 s18, s25, s18
	s_add_u32 s20, s23, s20
	s_mul_i32 s1, s2, 0x3d10
	s_addc_u32 s18, s18, s21
	s_mul_hi_u32 s0, s2, 0x3d10
	s_add_u32 s1, s20, s1
	s_addc_u32 s0, s18, s0
	s_add_u32 s16, s1, s16
	s_addc_u32 s17, s0, s17
	s_lshl_b64 s[20:21], s[2:3], 10
	s_mul_i32 s2, s35, s36
	s_mul_hi_u32 s24, s35, s35
	s_add_i32 s24, s24, s2
	s_and_b32 s0, s16, 0x3ffffff
	s_lshr_b64 s[16:17], s[16:17], 26
	s_and_b32 s33, s4, 0x3ffffff
	s_add_i32 s24, s24, s2
	s_mul_hi_u32 s2, s34, s28
	s_mul_i32 s26, s34, s28
	s_mul_i32 s28, s37, s10
	;; [unrolled: 1-line block ×3, first 2 shown]
	s_mul_hi_u32 s27, s37, s10
	s_mul_hi_u32 s29, s38, s38
	s_add_u32 s28, s28, s30
	s_addc_u32 s27, s27, s29
	s_add_u32 s26, s28, s26
	s_addc_u32 s2, s27, s2
	;; [unrolled: 2-line block ×3, first 2 shown]
	s_mul_i32 s4, s7, s33
	s_mul_i32 s23, s9, s31
	s_and_b32 s2, s14, 0x3ffffff
	s_lshr_b64 s[14:15], s[14:15], 26
	s_mul_hi_u32 s1, s7, s33
	s_mul_hi_u32 s18, s9, s31
	s_add_u32 s4, s23, s4
	s_mul_i32 s25, s35, s35
	s_addc_u32 s1, s18, s1
	s_add_u32 s4, s4, s25
	s_addc_u32 s1, s1, s24
	s_add_u32 s4, s4, s20
	s_mul_i32 s27, s2, 0x3d10
	s_addc_u32 s1, s1, s21
	s_mul_hi_u32 s26, s2, 0x3d10
	s_add_u32 s4, s4, s27
	s_addc_u32 s1, s1, s26
	s_add_u32 s16, s4, s16
	s_addc_u32 s17, s1, s17
	s_lshl_b32 s8, s8, 1
	s_and_b32 s8, s8, 0x7fffffe
	s_and_b32 s1, s16, 0x3ffffff
	s_lshr_b64 s[16:17], s[16:17], 26
	s_lshl_b64 s[20:21], s[2:3], 10
	s_mul_hi_u32 s2, s34, s10
	s_mul_i32 s10, s34, s10
	s_mul_i32 s25, s37, s8
	s_mul_hi_u32 s24, s37, s8
	s_add_u32 s10, s10, s25
	s_addc_u32 s2, s2, s24
	s_add_u32 s14, s10, s14
	s_addc_u32 s15, s2, s15
	s_mul_i32 s18, s7, s40
	s_mul_i32 s26, s9, s33
	s_and_b32 s2, s14, 0x3ffffff
	s_lshr_b64 s[24:25], s[14:15], 26
	s_mul_hi_u32 s4, s7, s40
	s_mul_hi_u32 s23, s9, s33
	s_add_u32 s15, s26, s18
	s_mul_i32 s28, s11, s31
	s_addc_u32 s4, s23, s4
	s_mul_hi_u32 s27, s11, s31
	s_add_u32 s15, s15, s28
	s_addc_u32 s4, s4, s27
	s_add_u32 s15, s15, s20
	s_mul_i32 s14, s2, 0x3d10
	s_addc_u32 s4, s4, s21
	s_mul_hi_u32 s10, s2, 0x3d10
	s_add_u32 s14, s15, s14
	s_addc_u32 s4, s4, s10
	s_add_u32 s16, s14, s16
	s_addc_u32 s17, s4, s17
	s_and_b32 s14, s16, 0x3ffffff
	s_lshr_b64 s[16:17], s[16:17], 26
	s_lshl_b64 s[20:21], s[2:3], 10
	s_mul_hi_u32 s2, s34, s8
	s_mul_i32 s8, s34, s8
	s_mul_i32 s30, s37, s37
	s_mul_hi_u32 s29, s37, s37
	s_add_u32 s8, s8, s30
	s_addc_u32 s2, s2, s29
	s_add_u32 s24, s8, s24
	s_addc_u32 s25, s2, s25
	s_mul_i32 s10, s7, s39
	s_mul_i32 s28, s31, s31
	s_and_b32 s2, s24, 0x3ffffff
	s_lshr_b64 s[24:25], s[24:25], 26
	s_mul_hi_u32 s4, s7, s39
	s_mul_hi_u32 s27, s31, s31
	s_add_u32 s10, s10, s28
	s_mul_i32 s18, s9, s40
	s_addc_u32 s4, s4, s27
	s_mul_hi_u32 s15, s9, s40
	s_add_u32 s10, s10, s18
	s_mul_i32 s26, s11, s33
	s_addc_u32 s4, s4, s15
	s_mul_hi_u32 s23, s11, s33
	s_add_u32 s10, s10, s26
	s_addc_u32 s4, s4, s23
	s_add_u32 s10, s10, s20
	s_mul_i32 s29, s2, 0x3d10
	s_addc_u32 s4, s4, s21
	s_mul_hi_u32 s8, s2, 0x3d10
	s_add_u32 s10, s10, s29
	s_addc_u32 s4, s4, s8
	s_add_u32 s16, s10, s16
	s_addc_u32 s17, s4, s17
	s_lshl_b64 s[20:21], s[2:3], 10
	s_lshl_b32 s2, s6, 1
	s_and_b32 s2, s2, 0x7fffffe
	s_and_b32 s15, s16, 0x3ffffff
	s_lshr_b64 s[16:17], s[16:17], 26
	s_mul_hi_u32 s6, s34, s2
	s_mul_i32 s2, s34, s2
	s_add_u32 s24, s24, s2
	s_addc_u32 s25, s25, s6
	s_mul_i32 s8, s7, s38
	s_mul_i32 s28, s33, s13
	s_and_b32 s2, s24, 0x3ffffff
	s_lshr_b64 s[24:25], s[24:25], 26
	s_mul_hi_u32 s4, s7, s38
	s_mul_hi_u32 s27, s33, s13
	s_add_u32 s8, s8, s28
	s_mul_i32 s18, s9, s39
	s_addc_u32 s4, s4, s27
	s_mul_hi_u32 s10, s9, s39
	s_add_u32 s8, s8, s18
	s_mul_i32 s26, s11, s40
	s_addc_u32 s4, s4, s10
	s_mul_hi_u32 s23, s11, s40
	s_add_u32 s8, s8, s26
	s_addc_u32 s4, s4, s23
	s_add_u32 s8, s8, s20
	s_mul_i32 s29, s2, 0x3d10
	s_addc_u32 s4, s4, s21
	s_mul_hi_u32 s6, s2, 0x3d10
	s_add_u32 s8, s8, s29
	s_addc_u32 s4, s4, s6
	s_add_u32 s20, s8, s16
	s_addc_u32 s21, s4, s17
	s_and_b32 s16, s20, 0x3ffffff
	s_lshr_b64 s[20:21], s[20:21], 26
	s_lshl_b64 s[26:27], s[2:3], 10
	s_mul_i32 s6, s34, s34
	s_mul_hi_u32 s2, s34, s34
	s_add_u32 s6, s24, s6
	s_mul_hi_u32 s4, s7, s37
	s_mul_i32 s10, s7, s37
	s_addc_u32 s7, s25, s2
	s_mul_hi_u32 s17, s9, s38
	s_mul_i32 s18, s9, s38
	s_mul_hi_u32 s28, s40, s13
	s_mul_i32 s13, s40, s13
	s_mul_i32 s30, s33, s33
	s_and_b32 s2, s6, 0x3ffffff
	s_lshr_b64 s[8:9], s[6:7], 26
	s_mul_hi_u32 s29, s33, s33
	s_add_u32 s13, s13, s30
	s_addc_u32 s28, s28, s29
	s_add_u32 s10, s13, s10
	s_addc_u32 s4, s28, s4
	s_add_u32 s10, s10, s18
	s_mul_hi_u32 s23, s11, s39
	s_mul_i32 s11, s11, s39
	s_addc_u32 s4, s4, s17
	s_add_u32 s10, s10, s11
	s_addc_u32 s4, s4, s23
	s_add_u32 s10, s10, s26
	s_mul_i32 s25, s2, 0x3d10
	s_addc_u32 s4, s4, s27
	s_mul_hi_u32 s24, s2, 0x3d10
	s_add_u32 s10, s10, s25
	s_addc_u32 s4, s4, s24
	v_mov_b32_e32 v0, s6
	s_add_u32 s10, s10, s20
	v_alignbit_b32 v0, s7, v0, 26
	s_addc_u32 s11, s4, s21
	s_lshl_b64 s[20:21], s[2:3], 10
	v_readfirstlane_b32 s2, v0
	s_and_b32 s17, s10, 0x3ffffff
	s_lshr_b64 s[10:11], s[10:11], 26
	s_mul_hi_u32 s4, s2, 0x3d10
	s_mulk_i32 s2, 0x3d10
	s_add_u32 s2, s2, s5
	s_addc_u32 s4, s4, 0
	s_add_u32 s2, s2, s20
	s_addc_u32 s5, s4, s21
	;; [unrolled: 2-line block ×3, first 2 shown]
	s_and_b32 s18, s4, 0x3fffff
	s_lshr_b64 s[4:5], s[4:5], 22
	s_lshl_b64 s[6:7], s[8:9], 14
	s_add_u32 s4, s4, s6
	s_addc_u32 s5, s5, s7
	s_mul_i32 s2, s5, 0x3d1
	s_mul_hi_u32 s6, s4, 0x3d1
	s_add_i32 s2, s6, s2
	s_mul_i32 s6, s4, 0x3d1
	s_add_u32 s6, s6, s19
	s_addc_u32 s7, s2, 0
	s_and_b32 s20, s6, 0x3ffffff
	s_lshr_b64 s[6:7], s[6:7], 26
	s_lshl_b64 s[4:5], s[4:5], 6
	s_add_u32 s2, s4, s12
	s_addc_u32 s5, s5, 0
	s_add_u32 s4, s2, s6
	s_addc_u32 s5, s5, s7
	s_and_b32 s23, s4, 0x3ffffff
	s_lshr_b64 s[4:5], s[4:5], 26
	s_add_u32 s22, s4, s22
	s_addc_u32 s24, s5, 0
	s_mul_i32 s7, s24, s60
	s_mul_hi_u32 s8, s22, s60
	s_add_i32 s8, s8, s7
	s_mul_i32 s10, s0, s81
	s_mul_i32 s12, s1, s95
	s_mul_hi_u32 s9, s0, s81
	s_mul_hi_u32 s11, s1, s95
	s_add_u32 s10, s12, s10
	s_mul_i32 s19, s14, s94
	s_addc_u32 s9, s11, s9
	s_mul_hi_u32 s13, s14, s94
	s_add_u32 s10, s10, s19
	s_mul_i32 s25, s15, s93
	s_addc_u32 s9, s9, s13
	;; [unrolled: 4-line block ×3, first 2 shown]
	s_mul_hi_u32 s26, s16, s58
	s_add_u32 s10, s10, s27
	v_writelane_b32 v15, s36, 6
	s_mul_i32 s29, s17, s56
	s_addc_u32 s9, s9, s26
	v_writelane_b32 v15, s35, 7
	s_mul_hi_u32 s28, s17, s56
	s_add_u32 s10, s10, s29
	v_writelane_b32 v15, s31, 8
	s_mul_i32 s31, s18, s88
	s_addc_u32 s9, s9, s28
	s_mul_hi_u32 s30, s18, s88
	s_add_u32 s10, s10, s31
	s_mul_i32 s4, s20, s64
	s_addc_u32 s9, s9, s30
	s_mul_hi_u32 s2, s20, s64
	s_add_u32 s4, s10, s4
	;; [unrolled: 4-line block ×3, first 2 shown]
	s_mul_i32 s7, s22, s60
	s_addc_u32 s2, s2, s5
	s_add_u32 s4, s4, s7
	s_addc_u32 s5, s2, s8
	s_mul_i32 s9, s24, s84
	s_mul_hi_u32 s10, s22, s84
	s_and_b32 s19, s4, 0x3ffffff
	s_lshr_b64 s[4:5], s[4:5], 26
	s_add_i32 s10, s10, s9
	s_mul_i32 s12, s0, s60
	s_mul_i32 s21, s1, s81
	s_mul_hi_u32 s11, s0, s60
	s_mul_hi_u32 s13, s1, s81
	s_add_u32 s12, s21, s12
	s_mul_i32 s26, s14, s95
	s_addc_u32 s11, s13, s11
	s_mul_hi_u32 s25, s14, s95
	s_add_u32 s12, s12, s26
	v_writelane_b32 v15, s37, 9
	s_mul_i32 s28, s15, s94
	s_addc_u32 s11, s11, s25
	v_writelane_b32 v15, s38, 10
	s_mul_hi_u32 s27, s15, s94
	s_add_u32 s12, s12, s28
	v_writelane_b32 v15, s39, 11
	s_mul_i32 s30, s16, s93
	s_addc_u32 s11, s11, s27
	v_writelane_b32 v15, s40, 12
	s_mul_hi_u32 s29, s16, s93
	s_add_u32 s12, s12, s30
	v_writelane_b32 v15, s33, 13
	s_mul_i32 s33, s17, s58
	s_addc_u32 s11, s11, s29
	s_mul_hi_u32 s31, s17, s58
	s_add_u32 s12, s12, s33
	s_mul_i32 s35, s18, s56
	s_addc_u32 s11, s11, s31
	v_writelane_b32 v15, s34, 14
	s_mul_hi_u32 s34, s18, s56
	s_add_u32 s12, s12, s35
	s_mul_i32 s8, s23, s64
	s_addc_u32 s11, s11, s34
	s_mul_hi_u32 s2, s23, s64
	s_add_u32 s8, s12, s8
	s_mul_i32 s9, s22, s84
	s_addc_u32 s2, s11, s2
	s_add_u32 s8, s8, s9
	s_addc_u32 s2, s2, s10
	s_add_u32 s4, s8, s4
	s_addc_u32 s5, s2, s5
	s_and_b32 s2, s4, 0x3ffffff
	s_mul_i32 s6, s20, s88
	s_lshr_b64 s[4:5], s[4:5], 26
	s_mul_i32 s9, s2, 0x3d10
	s_mul_hi_u32 s7, s20, s88
	s_mul_hi_u32 s8, s2, 0x3d10
	s_add_u32 s6, s9, s6
	s_addc_u32 s7, s8, s7
	s_lshl_b64 s[8:9], s[2:3], 10
	s_mul_i32 s2, s24, s64
	s_mul_hi_u32 s21, s22, s64
	s_and_b32 s25, s6, 0x3ffffff
	s_lshr_b64 s[6:7], s[6:7], 26
	s_add_i32 s21, s21, s2
	s_mul_i32 s27, s0, s84
	s_mul_i32 s29, s1, s60
	s_mul_hi_u32 s26, s0, s84
	s_mul_hi_u32 s28, s1, s60
	s_add_u32 s27, s29, s27
	s_mul_i32 s31, s14, s81
	s_addc_u32 s26, s28, s26
	s_mul_hi_u32 s30, s14, s81
	s_add_u32 s27, s27, s31
	s_mul_i32 s34, s15, s95
	s_addc_u32 s26, s26, s30
	;; [unrolled: 4-line block ×6, first 2 shown]
	s_add_u32 s2, s27, s2
	s_addc_u32 s21, s26, s21
	s_add_u32 s4, s2, s4
	s_addc_u32 s5, s21, s5
	s_mul_i32 s11, s20, s56
	s_mul_i32 s13, s23, s88
	s_and_b32 s2, s4, 0x3ffffff
	s_lshr_b64 s[4:5], s[4:5], 26
	s_mul_hi_u32 s10, s20, s56
	s_mul_hi_u32 s12, s23, s88
	s_add_u32 s11, s13, s11
	s_addc_u32 s10, s12, s10
	s_add_u32 s8, s11, s8
	s_addc_u32 s9, s10, s9
	s_add_u32 s6, s8, s6
	s_mul_i32 s26, s2, 0x3d10
	s_addc_u32 s7, s9, s7
	s_mul_hi_u32 s21, s2, 0x3d10
	s_add_u32 s6, s6, s26
	s_addc_u32 s7, s7, s21
	s_lshl_b64 s[8:9], s[2:3], 10
	s_mul_i32 s2, s24, s88
	s_mul_hi_u32 s21, s22, s88
	s_and_b32 s28, s6, 0x3ffffff
	s_lshr_b64 s[6:7], s[6:7], 26
	s_add_i32 s21, s21, s2
	s_mul_i32 s27, s0, s64
	s_mul_i32 s30, s1, s84
	s_mul_hi_u32 s2, s0, s64
	s_mul_hi_u32 s29, s1, s84
	s_add_u32 s27, s30, s27
	s_addc_u32 s2, s29, s2
	s_mul_i32 s30, s14, s60
	s_mul_hi_u32 s29, s14, s60
	s_add_u32 s27, s27, s30
	s_addc_u32 s2, s2, s29
	s_mul_i32 s30, s15, s81
	;; [unrolled: 4-line block ×5, first 2 shown]
	s_mul_hi_u32 s29, s18, s93
	s_add_u32 s27, s27, s30
	s_addc_u32 s2, s2, s29
	s_add_u32 s4, s27, s4
	s_addc_u32 s5, s2, s5
	s_mul_i32 s11, s20, s58
	s_mul_i32 s13, s23, s56
	s_and_b32 s2, s4, 0x3ffffff
	s_lshr_b64 s[4:5], s[4:5], 26
	s_mul_hi_u32 s10, s20, s58
	s_mul_hi_u32 s12, s23, s56
	s_add_u32 s11, s13, s11
	s_mul_i32 s26, s22, s88
	s_addc_u32 s10, s12, s10
	s_add_u32 s11, s11, s26
	s_addc_u32 s10, s10, s21
	s_add_u32 s8, s11, s8
	s_mul_i32 s29, s2, 0x3d10
	s_addc_u32 s9, s10, s9
	s_mul_hi_u32 s27, s2, 0x3d10
	s_add_u32 s8, s8, s29
	s_addc_u32 s9, s9, s27
	s_add_u32 s6, s8, s6
	s_addc_u32 s7, s9, s7
	s_lshl_b64 s[8:9], s[2:3], 10
	s_mul_i32 s2, s24, s56
	s_mul_hi_u32 s10, s22, s56
	s_and_b32 s29, s6, 0x3ffffff
	s_lshr_b64 s[6:7], s[6:7], 26
	s_add_i32 s27, s10, s2
	s_mul_i32 s10, s1, s64
	s_mul_i32 s34, s14, s84
	s_mul_hi_u32 s2, s1, s64
	s_mul_hi_u32 s11, s14, s84
	s_add_u32 s10, s34, s10
	s_addc_u32 s2, s11, s2
	s_mul_i32 s34, s15, s60
	s_mul_hi_u32 s11, s15, s60
	s_add_u32 s10, s10, s34
	s_addc_u32 s2, s2, s11
	s_mul_i32 s34, s16, s81
	;; [unrolled: 4-line block ×4, first 2 shown]
	s_mul_hi_u32 s11, s18, s94
	s_add_u32 s10, s10, s34
	s_addc_u32 s2, s2, s11
	s_add_u32 s4, s10, s4
	s_addc_u32 s5, s2, s5
	s_mul_i32 s13, s20, s93
	s_mul_i32 s33, s0, s88
	s_and_b32 s2, s4, 0x3ffffff
	s_lshr_b64 s[10:11], s[4:5], 26
	s_mul_hi_u32 s12, s20, s93
	s_mul_hi_u32 s31, s0, s88
	s_add_u32 s13, s13, s33
	s_mul_i32 s26, s23, s58
	s_addc_u32 s12, s12, s31
	s_mul_hi_u32 s21, s23, s58
	s_add_u32 s13, s13, s26
	s_mul_i32 s30, s22, s56
	s_addc_u32 s12, s12, s21
	s_add_u32 s13, s13, s30
	s_addc_u32 s12, s12, s27
	s_add_u32 s8, s13, s8
	s_mul_i32 s5, s2, 0x3d10
	s_addc_u32 s9, s12, s9
	s_mul_hi_u32 s4, s2, 0x3d10
	s_add_u32 s5, s8, s5
	s_addc_u32 s8, s9, s4
	s_add_u32 s4, s5, s6
	s_addc_u32 s5, s8, s7
	s_lshl_b64 s[8:9], s[2:3], 10
	s_mul_i32 s2, s24, s58
	s_mul_hi_u32 s27, s22, s58
	s_lshr_b64 s[6:7], s[4:5], 26
	s_add_i32 s27, s27, s2
	s_mul_i32 s36, s14, s64
	s_mul_i32 s38, s15, s84
	s_mul_hi_u32 s2, s14, s64
	s_mul_hi_u32 s37, s15, s84
	s_add_u32 s36, s38, s36
	s_addc_u32 s2, s37, s2
	s_mul_i32 s38, s16, s60
	s_mul_hi_u32 s37, s16, s60
	s_add_u32 s36, s36, s38
	s_addc_u32 s2, s2, s37
	s_mul_i32 s38, s17, s81
	;; [unrolled: 4-line block ×3, first 2 shown]
	s_mul_hi_u32 s37, s18, s95
	s_add_u32 s36, s36, s38
	s_addc_u32 s2, s2, s37
	s_add_u32 s10, s36, s10
	s_addc_u32 s11, s2, s11
	s_mul_i32 s33, s0, s56
	s_mul_i32 s35, s1, s88
	s_and_b32 s2, s10, 0x3ffffff
	s_lshr_b64 s[10:11], s[10:11], 26
	s_mul_hi_u32 s31, s0, s56
	s_mul_hi_u32 s34, s1, s88
	s_add_u32 s33, s35, s33
	s_mul_i32 s13, s20, s94
	s_addc_u32 s31, s34, s31
	s_mul_hi_u32 s12, s20, s94
	s_add_u32 s13, s33, s13
	s_mul_i32 s26, s23, s93
	s_addc_u32 s12, s31, s12
	;; [unrolled: 4-line block ×3, first 2 shown]
	s_add_u32 s13, s13, s30
	s_addc_u32 s12, s12, s27
	s_add_u32 s8, s13, s8
	s_mul_i32 s37, s2, 0x3d10
	s_addc_u32 s9, s12, s9
	s_mul_hi_u32 s36, s2, 0x3d10
	s_add_u32 s8, s8, s37
	s_addc_u32 s9, s9, s36
	s_add_u32 s6, s8, s6
	s_addc_u32 s7, s9, s7
	s_lshl_b64 s[12:13], s[2:3], 10
	s_mul_i32 s2, s24, s93
	s_mul_hi_u32 s31, s22, s93
	s_lshr_b64 s[8:9], s[6:7], 26
	s_add_i32 s31, s31, s2
	s_mul_i32 s40, s15, s64
	s_mul_i32 s42, s16, s84
	s_mul_hi_u32 s2, s15, s64
	s_mul_hi_u32 s41, s16, s84
	s_add_u32 s40, s42, s40
	s_addc_u32 s2, s41, s2
	s_mul_i32 s42, s17, s60
	s_mul_hi_u32 s41, s17, s60
	s_add_u32 s40, s40, s42
	s_addc_u32 s2, s2, s41
	s_mul_i32 s42, s18, s81
	s_mul_hi_u32 s41, s18, s81
	s_add_u32 s40, s40, s42
	s_addc_u32 s2, s2, s41
	s_add_u32 s10, s40, s10
	s_addc_u32 s11, s2, s11
	s_mul_i32 s35, s0, s58
	s_mul_i32 s37, s1, s56
	s_and_b32 s2, s10, 0x3ffffff
	s_lshr_b64 s[10:11], s[10:11], 26
	s_mul_hi_u32 s34, s0, s58
	s_mul_hi_u32 s36, s1, s56
	s_add_u32 s35, s37, s35
	s_mul_i32 s39, s14, s88
	s_addc_u32 s34, s36, s34
	s_mul_hi_u32 s38, s14, s88
	s_add_u32 s35, s35, s39
	s_mul_i32 s26, s20, s95
	s_addc_u32 s34, s34, s38
	;; [unrolled: 4-line block ×4, first 2 shown]
	s_add_u32 s26, s26, s33
	s_addc_u32 s21, s21, s31
	s_add_u32 s12, s26, s12
	s_mul_i32 s41, s2, 0x3d10
	s_addc_u32 s13, s21, s13
	s_mul_hi_u32 s40, s2, 0x3d10
	s_add_u32 s12, s12, s41
	s_addc_u32 s13, s13, s40
	s_add_u32 s8, s12, s8
	s_addc_u32 s9, s13, s9
	s_lshl_b64 s[26:27], s[2:3], 10
	s_mul_i32 s2, s24, s94
	s_mul_hi_u32 s30, s22, s94
	s_lshr_b64 s[12:13], s[8:9], 26
	s_add_i32 s36, s30, s2
	s_mul_i32 s30, s16, s64
	s_mul_i32 s46, s17, s84
	s_mul_hi_u32 s2, s16, s64
	s_mul_hi_u32 s31, s17, s84
	s_add_u32 s30, s46, s30
	s_addc_u32 s2, s31, s2
	s_mul_i32 s46, s18, s60
	s_mul_hi_u32 s31, s18, s60
	s_add_u32 s30, s30, s46
	s_addc_u32 s2, s2, s31
	s_add_u32 s10, s30, s10
	s_addc_u32 s11, s2, s11
	s_mul_i32 s39, s0, s93
	s_mul_i32 s41, s1, s58
	s_and_b32 s2, s10, 0x3ffffff
	s_lshr_b64 s[30:31], s[10:11], 26
	s_mul_hi_u32 s38, s0, s93
	s_mul_hi_u32 s40, s1, s58
	s_add_u32 s39, s41, s39
	s_mul_i32 s43, s14, s56
	s_addc_u32 s38, s40, s38
	s_mul_hi_u32 s42, s14, s56
	s_add_u32 s39, s39, s43
	s_mul_i32 s45, s15, s88
	s_addc_u32 s38, s38, s42
	;; [unrolled: 4-line block ×5, first 2 shown]
	s_add_u32 s33, s33, s37
	s_addc_u32 s21, s21, s36
	s_add_u32 s26, s33, s26
	s_mul_i32 s11, s2, 0x3d10
	s_addc_u32 s21, s21, s27
	s_mul_hi_u32 s10, s2, 0x3d10
	s_add_u32 s11, s26, s11
	s_addc_u32 s21, s21, s10
	s_add_u32 s10, s11, s12
	s_addc_u32 s11, s21, s13
	s_lshl_b64 s[26:27], s[2:3], 10
	s_mul_i32 s2, s24, s95
	s_mul_hi_u32 s36, s22, s95
	s_lshr_b64 s[12:13], s[10:11], 26
	s_add_i32 s36, s36, s2
	s_mul_i32 s48, s17, s64
	s_mul_i32 s50, s18, s84
	s_mul_hi_u32 s2, s17, s64
	s_mul_hi_u32 s49, s18, s84
	s_add_u32 s48, s50, s48
	s_addc_u32 s2, s49, s2
	s_add_u32 s30, s48, s30
	s_addc_u32 s31, s2, s31
	s_mul_i32 s39, s0, s94
	s_mul_i32 s41, s1, s93
	s_and_b32 s2, s30, 0x3ffffff
	s_lshr_b64 s[30:31], s[30:31], 26
	s_mul_hi_u32 s38, s0, s94
	s_mul_hi_u32 s40, s1, s93
	s_add_u32 s39, s41, s39
	s_mul_i32 s43, s14, s58
	s_addc_u32 s38, s40, s38
	s_mul_hi_u32 s42, s14, s58
	s_add_u32 s39, s39, s43
	s_mul_i32 s45, s15, s56
	s_addc_u32 s38, s38, s42
	;; [unrolled: 4-line block ×6, first 2 shown]
	s_add_u32 s33, s33, s37
	s_addc_u32 s21, s21, s36
	v_writelane_b32 v15, s84, 15
	s_add_u32 s26, s33, s26
	v_writelane_b32 v15, s60, 16
	s_mul_i32 s49, s2, 0x3d10
	s_addc_u32 s21, s21, s27
	v_writelane_b32 v15, s81, 17
	s_mul_hi_u32 s36, s0, s95
	s_mul_i32 s37, s0, s95
	s_mov_b32 s0, s58
	s_mul_hi_u32 s48, s2, 0x3d10
	s_add_u32 s26, s26, s49
	s_mul_hi_u32 s38, s1, s94
	s_mul_i32 s39, s1, s94
	v_writelane_b32 v15, s0, 18
	s_addc_u32 s21, s21, s48
	v_writelane_b32 v15, s1, 19
	s_add_u32 s12, s26, s12
	v_writelane_b32 v15, s56, 20
	s_addc_u32 s13, s21, s13
	s_lshl_b64 s[34:35], s[2:3], 10
	s_mul_i32 s24, s24, s81
	s_mul_hi_u32 s2, s22, s81
	v_writelane_b32 v15, s88, 21
	s_mul_hi_u32 s1, s18, s64
	s_mov_b32 s0, s64
	s_lshr_b64 s[26:27], s[12:13], 26
	s_add_i32 s24, s2, s24
	v_writelane_b32 v15, s0, 22
	s_mul_i32 s18, s18, s64
	v_writelane_b32 v15, s1, 23
	s_add_u32 s0, s30, s18
	s_addc_u32 s1, s31, s1
	s_mul_hi_u32 s40, s14, s93
	s_mul_i32 s41, s14, s93
	s_mul_hi_u32 s42, s15, s58
	s_mul_i32 s43, s15, s58
	s_and_b32 s2, s0, 0x3ffffff
	s_lshr_b64 s[14:15], s[0:1], 26
	s_add_u32 s31, s39, s37
	s_addc_u32 s36, s38, s36
	s_add_u32 s31, s31, s41
	s_addc_u32 s36, s36, s40
	s_add_u32 s31, s31, s43
	s_mul_hi_u32 s44, s16, s56
	s_mul_i32 s16, s16, s56
	s_addc_u32 s36, s36, s42
	s_add_u32 s16, s31, s16
	s_mul_hi_u32 s45, s17, s88
	s_mul_i32 s17, s17, s88
	;; [unrolled: 4-line block ×4, first 2 shown]
	s_addc_u32 s17, s17, s21
	s_add_u32 s16, s16, s23
	s_mul_i32 s22, s22, s81
	s_addc_u32 s17, s17, s33
	s_add_u32 s16, s16, s22
	s_addc_u32 s17, s17, s24
	s_add_u32 s16, s16, s34
	s_mul_i32 s30, s2, 0x3d10
	s_addc_u32 s17, s17, s35
	s_mul_hi_u32 s18, s2, 0x3d10
	s_add_u32 s16, s16, s30
	s_addc_u32 s17, s17, s18
	v_mov_b32_e32 v0, s0
	s_add_u32 s16, s16, s26
	v_alignbit_b32 v0, s1, v0, 26
	s_addc_u32 s17, s17, s27
	v_readfirstlane_b32 s0, v0
	s_lshr_b64 s[20:21], s[16:17], 26
	s_lshl_b64 s[22:23], s[2:3], 10
	s_mul_hi_u32 s1, s0, 0x3d10
	s_mulk_i32 s0, 0x3d10
	s_add_u32 s0, s0, s19
	s_addc_u32 s1, s1, 0
	s_add_u32 s0, s0, s22
	s_addc_u32 s1, s1, s23
	;; [unrolled: 2-line block ×3, first 2 shown]
	s_lshr_b64 s[0:1], s[26:27], 22
	s_lshl_b64 s[14:15], s[14:15], 14
	s_add_u32 s0, s0, s14
	s_addc_u32 s1, s1, s15
	s_mul_i32 s2, s1, 0x3d1
	s_mul_hi_u32 s14, s0, 0x3d1
	s_add_i32 s2, s14, s2
	s_mul_i32 s14, s0, 0x3d1
	s_add_u32 s14, s14, s25
	s_addc_u32 s15, s2, 0
	s_lshr_b64 s[18:19], s[14:15], 26
	s_lshl_b64 s[0:1], s[0:1], 6
	s_add_u32 s0, s0, s28
	s_addc_u32 s1, s1, 0
	s_add_u32 s24, s0, s18
	s_addc_u32 s25, s1, s19
	s_lshr_b64 s[0:1], s[24:25], 26
	s_add_u32 vcc_lo, s0, s29
	s_mov_b32 s1, 3
	s_mov_b64 s[46:47], s[14:15]
	s_mov_b64 s[44:45], s[24:25]
	s_mov_b64 s[40:41], vcc
	s_mov_b64 s[30:31], s[4:5]
	s_mov_b64 s[28:29], s[6:7]
	;; [unrolled: 1-line block ×7, first 2 shown]
.LBB0_3:                                ; =>This Inner Loop Header: Depth=1
	s_lshl_b32 s18, s30, 1
	s_lshl_b32 s20, s28, 1
	;; [unrolled: 1-line block ×4, first 2 shown]
	s_and_b32 s13, s36, 0x3ffffff
	s_and_b32 s2, s38, 0x3ffffff
	;; [unrolled: 1-line block ×6, first 2 shown]
	s_lshl_b32 s9, s40, 1
	s_and_b32 s11, s34, 0x3ffffff
	s_and_b32 s41, s15, 0x7fffffe
	;; [unrolled: 1-line block ×3, first 2 shown]
	s_mul_i32 s27, s13, s37
	s_mul_i32 s69, s22, s2
	s_mul_hi_u32 s33, s13, s37
	s_mul_hi_u32 s47, s22, s2
	s_add_u32 s69, s27, s69
	s_mul_i32 s55, s11, s9
	s_addc_u32 s92, s33, s47
	s_mul_hi_u32 s19, s11, s9
	s_mul_hi_u32 s53, s2, s2
	s_mul_i32 s54, s2, s2
	s_mul_hi_u32 s58, s2, s9
	s_mul_i32 s59, s2, s9
	;; [unrolled: 2-line block ×5, first 2 shown]
	s_add_u32 s2, s69, s55
	s_mul_i32 s68, s7, s39
	s_addc_u32 s19, s92, s19
	s_mul_hi_u32 s67, s7, s39
	s_add_u32 s2, s2, s68
	s_mul_i32 s66, s5, s41
	s_addc_u32 s19, s19, s67
	s_mul_hi_u32 s0, s5, s41
	s_add_u32 s66, s2, s66
	s_addc_u32 s67, s19, s0
	s_mul_i32 s75, s13, s22
	s_and_b32 s19, s66, 0x3fffffe
	s_and_b32 s0, s46, 0x3ffffff
	s_lshr_b64 s[66:67], s[66:67], 26
	s_mul_hi_u32 s74, s13, s22
	s_add_u32 s2, s75, s54
	s_mul_i32 s73, s11, s37
	s_addc_u32 s53, s74, s53
	s_mul_hi_u32 s72, s11, s37
	s_add_u32 s2, s2, s73
	s_mul_i32 s52, s7, s9
	s_addc_u32 s53, s53, s72
	;; [unrolled: 4-line block ×3, first 2 shown]
	s_mul_hi_u32 s70, s5, s39
	s_add_u32 s2, s2, s71
	s_addc_u32 s18, s18, s70
	s_add_u32 s52, s2, s66
	s_addc_u32 s53, s18, s67
	s_and_b32 s2, s52, 0x3ffffff
	s_mul_hi_u32 s46, s0, s0
	s_mul_i32 s0, s0, s0
	s_lshr_b64 s[52:53], s[52:53], 26
	s_mul_i32 s54, s2, 0x3d10
	s_mul_hi_u32 s18, s2, 0x3d10
	s_add_u32 s54, s54, s0
	s_addc_u32 s55, s18, s46
	s_lshl_b64 s[66:67], s[2:3], 10
	s_lshl_b32 s2, s38, 1
	s_and_b32 s2, s2, 0x7fffffe
	s_mul_hi_u32 s20, s13, s13
	s_mul_i32 s31, s13, s13
	s_mul_hi_u32 s15, s13, s9
	s_mul_i32 s17, s13, s9
	s_mul_i32 s79, s11, s22
	s_mul_hi_u32 s21, s13, s41
	s_mul_i32 s63, s13, s41
	s_mul_hi_u32 s61, s13, s39
	s_mul_i32 s62, s13, s39
	s_and_b32 s18, s54, 0x3fffffd
	s_and_b32 s0, s44, 0x3ffffff
	s_lshr_b64 s[54:55], s[54:55], 26
	s_mul_hi_u32 s68, s2, s13
	s_mul_i32 s13, s2, s13
	s_mul_hi_u32 s78, s11, s22
	s_mul_hi_u32 s69, s11, s2
	s_mul_i32 s70, s11, s2
	s_mul_hi_u32 s71, s7, s2
	s_mul_i32 s72, s7, s2
	;; [unrolled: 2-line block ×3, first 2 shown]
	s_add_u32 s2, s79, s13
	s_mul_i32 s77, s7, s37
	s_addc_u32 s13, s78, s68
	s_mul_hi_u32 s76, s7, s37
	s_add_u32 s2, s2, s77
	s_mul_i32 s51, s5, s9
	s_addc_u32 s13, s13, s76
	s_mul_hi_u32 s50, s5, s9
	s_add_u32 s2, s2, s51
	s_addc_u32 s13, s13, s50
	s_add_u32 s50, s2, s52
	s_addc_u32 s51, s13, s53
	s_mul_i32 s44, s41, s0
	s_and_b32 s2, s50, 0x3ffffff
	s_lshr_b64 s[50:51], s[50:51], 26
	s_mul_hi_u32 s38, s41, s0
	s_add_u32 s44, s66, s44
	s_addc_u32 s38, s67, s38
	s_add_u32 s44, s44, s54
	s_mul_i32 s52, s2, 0x3d10
	s_addc_u32 s38, s38, s55
	s_mul_hi_u32 s13, s2, 0x3d10
	s_add_u32 s52, s44, s52
	s_addc_u32 s53, s38, s13
	s_and_b32 s13, s52, 0x3ffffff
	s_lshl_b64 s[54:55], s[2:3], 10
	s_lshr_b64 s[52:53], s[52:53], 26
	s_add_u32 s2, s70, s31
	s_mul_i32 s85, s7, s22
	s_addc_u32 s20, s69, s20
	s_mul_hi_u32 s84, s7, s22
	s_add_u32 s2, s2, s85
	s_mul_i32 s83, s5, s37
	s_addc_u32 s20, s20, s84
	s_mul_hi_u32 s82, s5, s37
	s_add_u32 s2, s2, s83
	s_addc_u32 s20, s20, s82
	s_add_u32 s50, s2, s50
	s_addc_u32 s51, s20, s51
	s_mul_i32 s81, s40, s41
	s_mul_hi_u32 s46, s0, s0
	s_mul_i32 s0, s0, s0
	s_and_b32 s2, s50, 0x3ffffff
	s_lshr_b64 s[50:51], s[50:51], 26
	s_mul_hi_u32 s80, s40, s41
	s_add_u32 s0, s81, s0
	s_addc_u32 s38, s80, s46
	s_add_u32 s0, s0, s54
	s_mul_i32 s31, s2, 0x3d10
	s_addc_u32 s38, s38, s55
	s_mul_hi_u32 s20, s2, 0x3d10
	s_add_u32 s0, s0, s31
	s_addc_u32 s20, s38, s20
	s_add_u32 s52, s0, s52
	s_addc_u32 s53, s20, s53
	s_lshl_b64 s[54:55], s[2:3], 10
	s_lshl_b32 s2, s36, 1
	s_and_b32 s2, s2, 0x7fffffe
	s_mul_hi_u32 s29, s40, s40
	s_mul_i32 s35, s40, s40
	s_mul_hi_u32 s43, s11, s11
	s_mul_i32 s45, s11, s11
	;; [unrolled: 2-line block ×5, first 2 shown]
	s_and_b32 s20, s52, 0x3ffffff
	s_and_b32 s0, s30, 0x3ffffff
	s_lshr_b64 s[30:31], s[52:53], 26
	s_mul_hi_u32 s52, s2, s11
	s_mul_i32 s11, s2, s11
	s_mul_hi_u32 s69, s7, s2
	s_mul_i32 s70, s7, s2
	;; [unrolled: 2-line block ×3, first 2 shown]
	s_add_u32 s2, s72, s11
	s_mul_i32 s89, s5, s22
	s_addc_u32 s11, s71, s52
	s_mul_hi_u32 s88, s5, s22
	s_add_u32 s2, s2, s89
	s_addc_u32 s11, s11, s88
	s_add_u32 s50, s2, s50
	s_addc_u32 s51, s11, s51
	s_mul_i32 s38, s0, s41
	s_and_b32 s2, s50, 0x3ffffff
	s_lshr_b64 s[50:51], s[50:51], 26
	s_mul_hi_u32 s36, s0, s41
	s_add_u32 s38, s38, s87
	s_addc_u32 s36, s36, s86
	s_add_u32 s38, s38, s54
	s_mul_i32 s52, s2, 0x3d10
	s_addc_u32 s36, s36, s55
	s_mul_hi_u32 s11, s2, 0x3d10
	s_add_u32 s38, s38, s52
	s_addc_u32 s11, s36, s11
	s_add_u32 s30, s38, s30
	s_addc_u32 s31, s11, s31
	s_lshl_b64 s[52:53], s[2:3], 10
	s_and_b32 s11, s28, 0x3ffffff
	s_lshr_b64 s[54:55], s[30:31], 26
	s_add_u32 s2, s70, s45
	s_addc_u32 s36, s69, s43
	s_add_u32 s2, s2, s74
	s_mul_hi_u32 s78, s37, s11
	s_mul_i32 s79, s37, s11
	s_addc_u32 s37, s36, s73
	s_add_u32 s36, s2, s50
	s_addc_u32 s37, s37, s51
	s_mul_i32 s46, s0, s39
	s_and_b32 s2, s36, 0x3ffffff
	s_lshr_b64 s[36:37], s[36:37], 26
	s_mul_hi_u32 s44, s0, s39
	s_add_u32 s35, s46, s35
	s_mul_i32 s31, s11, s41
	s_addc_u32 s29, s44, s29
	s_mul_hi_u32 s28, s11, s41
	s_add_u32 s31, s35, s31
	s_addc_u32 s28, s29, s28
	s_add_u32 s29, s31, s52
	s_mul_hi_u32 s22, s7, s41
	s_mul_i32 s23, s7, s41
	s_mul_hi_u32 s41, s11, s39
	s_mul_i32 s71, s11, s39
	s_mul_i32 s39, s2, 0x3d10
	s_addc_u32 s28, s28, s53
	s_mul_hi_u32 s38, s2, 0x3d10
	s_add_u32 s29, s29, s39
	s_addc_u32 s31, s28, s38
	s_add_u32 s28, s29, s54
	s_addc_u32 s29, s31, s55
	s_lshl_b64 s[38:39], s[2:3], 10
	s_lshl_b32 s2, s34, 1
	s_and_b32 s2, s2, 0x7fffffe
	s_mul_hi_u32 s56, s7, s7
	s_mul_i32 s57, s7, s7
	s_lshr_b64 s[34:35], s[28:29], 26
	s_mul_hi_u32 s29, s2, s7
	s_mul_i32 s7, s2, s7
	s_mul_hi_u32 s31, s5, s2
	s_mul_i32 s43, s5, s2
	s_add_u32 s2, s76, s7
	s_addc_u32 s7, s75, s29
	s_add_u32 s36, s2, s36
	s_addc_u32 s37, s7, s37
	s_mul_i32 s67, s9, s0
	s_and_b32 s2, s36, 0x3ffffff
	s_lshr_b64 s[36:37], s[36:37], 26
	s_mul_hi_u32 s66, s9, s0
	s_add_u32 s44, s71, s67
	s_addc_u32 s41, s41, s66
	s_add_u32 s44, s44, s91
	s_addc_u32 s41, s41, s90
	s_add_u32 s38, s44, s38
	s_mul_i32 s29, s2, 0x3d10
	s_addc_u32 s39, s41, s39
	s_mul_hi_u32 s7, s2, 0x3d10
	s_add_u32 s29, s38, s29
	s_addc_u32 s7, s39, s7
	s_add_u32 s38, s29, s34
	s_addc_u32 s39, s7, s35
	s_lshl_b64 s[34:35], s[2:3], 10
	s_lshr_b64 s[44:45], s[38:39], 26
	s_add_u32 s2, s43, s57
	s_addc_u32 s7, s31, s56
	s_add_u32 s36, s2, s36
	s_addc_u32 s37, s7, s37
	s_mul_hi_u32 s68, s0, s0
	s_mul_i32 s0, s0, s0
	s_mul_i32 s77, s11, s9
	s_and_b32 s2, s36, 0x3ffffff
	s_lshr_b64 s[50:51], s[36:37], 26
	s_mul_hi_u32 s72, s11, s9
	s_add_u32 s0, s77, s0
	s_addc_u32 s31, s72, s68
	s_add_u32 s0, s0, s65
	s_addc_u32 s31, s31, s64
	;; [unrolled: 2-line block ×3, first 2 shown]
	s_add_u32 s0, s0, s34
	s_mul_i32 s29, s2, 0x3d10
	s_addc_u32 s21, s21, s35
	s_mul_hi_u32 s7, s2, 0x3d10
	s_add_u32 s0, s0, s29
	s_addc_u32 s7, s21, s7
	s_add_u32 s36, s0, s44
	s_addc_u32 s37, s7, s45
	s_lshl_b32 s0, s42, 1
	s_and_b32 s0, s0, 0x7fffffe
	s_lshl_b64 s[34:35], s[2:3], 10
	s_lshr_b64 s[42:43], s[36:37], 26
	s_mul_hi_u32 s2, s0, s5
	s_mul_i32 s0, s0, s5
	s_add_u32 s44, s50, s0
	s_addc_u32 s45, s51, s2
	s_and_b32 s2, s44, 0x3ffffff
	s_lshr_b64 s[44:45], s[44:45], 26
	s_add_u32 s7, s59, s79
	s_addc_u32 s21, s58, s78
	s_add_u32 s7, s7, s62
	s_addc_u32 s21, s21, s61
	;; [unrolled: 2-line block ×3, first 2 shown]
	s_add_u32 s7, s7, s34
	s_mul_hi_u32 s48, s5, s5
	s_mul_i32 s49, s5, s5
	s_mul_i32 s5, s2, 0x3d10
	s_addc_u32 s21, s21, s35
	s_mul_hi_u32 s0, s2, 0x3d10
	s_add_u32 s5, s7, s5
	s_addc_u32 s0, s21, s0
	s_add_u32 s34, s5, s42
	s_addc_u32 s35, s0, s43
	s_lshl_b64 s[42:43], s[2:3], 10
	s_lshr_b64 s[40:41], s[34:35], 26
	s_add_u32 s44, s44, s49
	s_addc_u32 s45, s45, s48
	s_mul_hi_u32 s9, s11, s11
	s_mul_i32 s11, s11, s11
	s_and_b32 s2, s44, 0x3ffffff
	s_lshr_b64 s[50:51], s[44:45], 26
	s_add_u32 s7, s47, s11
	s_addc_u32 s9, s33, s9
	s_add_u32 s7, s7, s17
	s_addc_u32 s9, s9, s15
	;; [unrolled: 2-line block ×4, first 2 shown]
	s_add_u32 s7, s7, s42
	s_mul_i32 s5, s2, 0x3d10
	s_addc_u32 s9, s9, s43
	s_mul_hi_u32 s0, s2, 0x3d10
	s_add_u32 s5, s7, s5
	v_mov_b32_e32 v0, s44
	s_addc_u32 s0, s9, s0
	v_alignbit_b32 v0, s45, v0, 26
	s_add_u32 s42, s5, s40
	v_readfirstlane_b32 s11, v0
	s_addc_u32 s43, s0, s41
	s_mul_hi_u32 s21, s11, 0x3d10
	s_mulk_i32 s11, 0x3d10
	s_lshl_b64 s[22:23], s[2:3], 10
	s_lshr_b64 s[40:41], s[42:43], 26
	s_add_u32 s0, s11, s19
	s_addc_u32 s2, s21, 0
	s_add_u32 s0, s0, s22
	s_addc_u32 s2, s2, s23
	;; [unrolled: 2-line block ×3, first 2 shown]
	s_lshl_b64 s[22:23], s[50:51], 14
	s_lshr_b64 s[40:41], s[48:49], 22
	s_add_u32 s22, s40, s22
	s_addc_u32 s23, s41, s23
	s_mul_hi_u32 s0, s22, 0x3d1
	s_mul_i32 s5, s23, 0x3d1
	s_mul_i32 s2, s22, 0x3d1
	s_add_i32 s0, s0, s5
	s_add_u32 s46, s2, s18
	s_addc_u32 s47, s0, 0
	s_lshl_b64 s[18:19], s[22:23], 6
	s_lshr_b64 s[22:23], s[46:47], 26
	s_add_u32 s0, s18, s13
	s_addc_u32 s2, s19, 0
	s_add_u32 s44, s0, s22
	s_addc_u32 s45, s2, s23
	s_lshr_b64 s[18:19], s[44:45], 26
	s_add_i32 s1, s1, -1
	s_add_u32 s40, s18, s20
	s_cmp_lg_u32 s1, 0
	s_cbranch_scc1 .LBB0_3
; %bb.4:
	s_and_b32 s77, s16, 0x3ffffff
	s_and_b32 s16, s30, 0x3ffffff
	;; [unrolled: 1-line block ×9, first 2 shown]
	s_mul_i32 s11, s16, s18
	s_mul_i32 s12, s20, s88
	s_and_b32 s22, s38, 0x3ffffff
	s_and_b32 s89, s6, 0x3ffffff
	;; [unrolled: 1-line block ×9, first 2 shown]
	s_mul_hi_u32 s10, s16, s18
	s_mul_hi_u32 s8, s20, s88
	s_add_u32 s11, s12, s11
	s_mul_i32 s13, s22, s89
	s_addc_u32 s8, s8, s10
	s_mul_hi_u32 s6, s22, s89
	s_add_u32 s10, s11, s13
	s_mul_i32 s19, s23, s90
	s_addc_u32 s6, s8, s6
	s_mul_hi_u32 s4, s23, s90
	s_add_u32 s8, s10, s19
	s_mul_i32 s27, s25, vcc_lo
	s_addc_u32 s4, s6, s4
	s_mul_hi_u32 s21, s25, vcc_lo
	s_add_u32 s6, s8, s27
	s_mul_i32 s29, s26, s91
	s_addc_u32 s4, s4, s21
	s_mul_hi_u32 s28, s26, s91
	s_add_u32 s6, s6, s29
	s_mul_i32 s30, s24, s92
	s_addc_u32 s4, s4, s28
	s_mul_hi_u32 s14, s24, s92
	s_add_u32 s6, s6, s30
	s_mul_i32 s1, s15, s76
	s_addc_u32 s4, s4, s14
	s_mul_hi_u32 s0, s15, s76
	s_add_u32 s1, s6, s1
	s_mul_i32 s5, s17, s77
	s_addc_u32 s0, s4, s0
	s_mul_hi_u32 s2, s17, s77
	s_add_u32 s1, s1, s5
	s_mul_i32 s9, s40, s78
	s_addc_u32 s0, s0, s2
	s_mul_hi_u32 s7, s40, s78
	s_add_u32 s4, s1, s9
	s_addc_u32 s5, s0, s7
	s_and_b32 s19, s4, 0x3ffffff
	s_lshr_b64 s[4:5], s[4:5], 26
	s_mul_i32 s10, s16, s78
	s_mul_i32 s12, s20, s18
	s_mul_hi_u32 s9, s16, s78
	s_mul_hi_u32 s11, s20, s18
	s_add_u32 s10, s12, s10
	s_mul_i32 s14, s22, s88
	s_addc_u32 s9, s11, s9
	s_mul_hi_u32 s13, s22, s88
	s_add_u32 s10, s10, s14
	s_mul_i32 s27, s23, s89
	s_addc_u32 s9, s9, s13
	s_mul_hi_u32 s21, s23, s89
	s_add_u32 s10, s10, s27
	s_mul_i32 s29, s25, s90
	s_addc_u32 s9, s9, s21
	s_mul_hi_u32 s28, s25, s90
	s_add_u32 s10, s10, s29
	s_mul_i32 s31, s26, vcc_lo
	s_addc_u32 s9, s9, s28
	s_mul_hi_u32 s30, s26, vcc_lo
	s_add_u32 s10, s10, s31
	s_mul_i32 s34, s24, s91
	s_addc_u32 s9, s9, s30
	s_mul_hi_u32 s33, s24, s91
	s_add_u32 s10, s10, s34
	s_mul_i32 s6, s17, s76
	s_addc_u32 s9, s9, s33
	s_mul_hi_u32 s2, s17, s76
	;; [unrolled: 4-line block ×3, first 2 shown]
	s_add_u32 s6, s6, s8
	s_addc_u32 s2, s2, s7
	s_add_u32 s4, s6, s4
	s_addc_u32 s5, s2, s5
	s_and_b32 s2, s4, 0x3ffffff
	s_mul_i32 s1, s15, s92
	s_lshr_b64 s[4:5], s[4:5], 26
	s_mul_i32 s6, s2, 0x3d10
	s_mul_hi_u32 s0, s15, s92
	s_mul_hi_u32 s7, s2, 0x3d10
	s_add_u32 s6, s6, s1
	s_mov_b32 s3, 0
	s_addc_u32 s7, s7, s0
	s_and_b32 s28, s6, 0x3ffffff
	s_lshr_b64 s[6:7], s[6:7], 26
	s_lshl_b64 s[8:9], s[2:3], 10
	s_mul_i32 s14, s16, s77
	s_mul_i32 s27, s20, s78
	s_mul_hi_u32 s13, s16, s77
	s_mul_hi_u32 s21, s20, s78
	s_add_u32 s14, s27, s14
	s_mul_i32 s30, s22, s18
	s_addc_u32 s13, s21, s13
	s_mul_hi_u32 s29, s22, s18
	s_add_u32 s14, s14, s30
	s_mul_i32 s33, s23, s88
	s_addc_u32 s13, s13, s29
	;; [unrolled: 4-line block ×4, first 2 shown]
	s_mul_hi_u32 s36, s26, s90
	s_add_u32 s14, s14, s37
	s_mul_i32 s39, s24, vcc_lo
	s_addc_u32 s13, s13, s36
	s_mul_hi_u32 s38, s24, vcc_lo
	s_add_u32 s14, s14, s39
	s_mul_i32 s12, s40, s76
	s_addc_u32 s13, s13, s38
	s_mul_hi_u32 s2, s40, s76
	s_add_u32 s12, s14, s12
	s_addc_u32 s2, s13, s2
	s_add_u32 s4, s12, s4
	s_addc_u32 s5, s2, s5
	s_mul_i32 s1, s15, s91
	s_mul_i32 s11, s17, s92
	s_and_b32 s2, s4, 0x3ffffff
	s_lshr_b64 s[4:5], s[4:5], 26
	s_mul_hi_u32 s0, s15, s91
	s_mul_hi_u32 s10, s17, s92
	s_add_u32 s1, s11, s1
	s_addc_u32 s0, s10, s0
	s_add_u32 s1, s1, s8
	s_addc_u32 s0, s0, s9
	s_add_u32 s1, s1, s6
	s_mul_i32 s13, s2, 0x3d10
	s_addc_u32 s0, s0, s7
	s_mul_hi_u32 s12, s2, 0x3d10
	s_add_u32 s6, s1, s13
	s_addc_u32 s7, s0, s12
	s_and_b32 s29, s6, 0x3ffffff
	s_lshr_b64 s[6:7], s[6:7], 26
	s_lshl_b64 s[8:9], s[2:3], 10
	s_mul_i32 s14, s16, s76
	s_mul_i32 s27, s20, s77
	s_mul_hi_u32 s2, s16, s76
	s_mul_hi_u32 s21, s20, s77
	s_add_u32 s14, s27, s14
	s_mul_i32 s31, s22, s78
	s_addc_u32 s2, s21, s2
	s_mul_hi_u32 s30, s22, s78
	s_add_u32 s14, s14, s31
	s_mul_i32 s34, s23, s18
	s_addc_u32 s2, s2, s30
	;; [unrolled: 4-line block ×5, first 2 shown]
	s_mul_hi_u32 s39, s24, s90
	s_add_u32 s14, s14, s41
	s_addc_u32 s2, s2, s39
	s_add_u32 s4, s14, s4
	s_addc_u32 s5, s2, s5
	s_mul_i32 s1, s15, vcc_lo
	s_mul_i32 s11, s17, s91
	s_and_b32 s2, s4, 0x3ffffff
	s_lshr_b64 s[4:5], s[4:5], 26
	s_mul_hi_u32 s0, s15, vcc_lo
	s_mul_hi_u32 s10, s17, s91
	s_add_u32 s1, s11, s1
	s_mul_i32 s13, s40, s92
	s_addc_u32 s0, s10, s0
	s_mul_hi_u32 s12, s40, s92
	s_add_u32 s1, s1, s13
	s_addc_u32 s0, s0, s12
	s_add_u32 s1, s1, s8
	s_mul_i32 s21, s2, 0x3d10
	s_addc_u32 s0, s0, s9
	s_mul_hi_u32 s14, s2, 0x3d10
	s_add_u32 s1, s1, s21
	s_addc_u32 s0, s0, s14
	s_add_u32 s6, s1, s6
	s_addc_u32 s7, s0, s7
	s_and_b32 s30, s6, 0x3ffffff
	s_lshr_b64 s[6:7], s[6:7], 26
	s_lshl_b64 s[8:9], s[2:3], 10
	s_mul_i32 s10, s20, s76
	s_mul_i32 s33, s22, s77
	s_mul_hi_u32 s2, s20, s76
	s_mul_hi_u32 s11, s22, s77
	s_add_u32 s10, s33, s10
	s_mul_i32 s35, s23, s78
	s_addc_u32 s2, s11, s2
	s_mul_hi_u32 s34, s23, s78
	s_add_u32 s10, s10, s35
	s_mul_i32 s37, s25, s18
	s_addc_u32 s2, s2, s34
	;; [unrolled: 4-line block ×4, first 2 shown]
	s_mul_hi_u32 s41, s24, s89
	s_add_u32 s10, s10, s42
	s_addc_u32 s2, s2, s41
	s_add_u32 s4, s10, s4
	s_addc_u32 s5, s2, s5
	s_mul_i32 s1, s15, s90
	s_mul_i32 s31, s16, s92
	s_and_b32 s2, s4, 0x3ffffff
	s_lshr_b64 s[10:11], s[4:5], 26
	s_mul_hi_u32 s0, s15, s90
	s_mul_hi_u32 s27, s16, s92
	s_add_u32 s1, s1, s31
	s_mul_i32 s13, s17, vcc_lo
	s_addc_u32 s0, s0, s27
	s_mul_hi_u32 s12, s17, vcc_lo
	s_add_u32 s1, s1, s13
	s_mul_i32 s21, s40, s91
	s_addc_u32 s0, s0, s12
	s_mul_hi_u32 s14, s40, s91
	s_add_u32 s1, s1, s21
	s_addc_u32 s0, s0, s14
	s_add_u32 s1, s1, s8
	s_mul_i32 s5, s2, 0x3d10
	s_addc_u32 s0, s0, s9
	s_mul_hi_u32 s4, s2, 0x3d10
	s_add_u32 s1, s1, s5
	s_addc_u32 s0, s0, s4
	s_add_u32 s4, s1, s6
	s_addc_u32 s5, s0, s7
	s_lshr_b64 s[6:7], s[4:5], 26
	s_lshl_b64 s[8:9], s[2:3], 10
	s_mul_i32 s34, s22, s76
	s_mul_i32 s36, s23, s77
	s_mul_hi_u32 s2, s22, s76
	s_mul_hi_u32 s35, s23, s77
	s_add_u32 s34, s36, s34
	s_mul_i32 s38, s25, s78
	s_addc_u32 s2, s35, s2
	s_mul_hi_u32 s37, s25, s78
	s_add_u32 s34, s34, s38
	s_mul_i32 s41, s26, s18
	s_addc_u32 s2, s2, s37
	;; [unrolled: 4-line block ×3, first 2 shown]
	s_mul_hi_u32 s42, s24, s88
	s_add_u32 s34, s34, s43
	s_addc_u32 s2, s2, s42
	s_add_u32 s10, s34, s10
	s_addc_u32 s11, s2, s11
	s_mul_i32 s27, s16, s91
	s_mul_i32 s33, s20, s92
	s_and_b32 s2, s10, 0x3ffffff
	s_lshr_b64 s[10:11], s[10:11], 26
	s_mul_hi_u32 s21, s16, s91
	s_mul_hi_u32 s31, s20, s92
	s_add_u32 s27, s33, s27
	s_mul_i32 s1, s15, s89
	s_addc_u32 s21, s31, s21
	s_mul_hi_u32 s0, s15, s89
	s_add_u32 s1, s27, s1
	s_mul_i32 s12, s17, s90
	s_addc_u32 s0, s21, s0
	s_mul_hi_u32 s5, s17, s90
	s_add_u32 s1, s1, s12
	s_mul_i32 s14, s40, vcc_lo
	s_addc_u32 s0, s0, s5
	s_mul_hi_u32 s13, s40, vcc_lo
	s_add_u32 s1, s1, s14
	s_addc_u32 s0, s0, s13
	s_add_u32 s1, s1, s8
	s_mul_i32 s35, s2, 0x3d10
	s_addc_u32 s0, s0, s9
	s_mul_hi_u32 s34, s2, 0x3d10
	s_add_u32 s1, s1, s35
	s_addc_u32 s0, s0, s34
	s_add_u32 s6, s1, s6
	s_addc_u32 s7, s0, s7
	s_lshr_b64 s[8:9], s[6:7], 26
	s_lshl_b64 s[12:13], s[2:3], 10
	s_mul_i32 s37, s23, s76
	s_mul_i32 s39, s25, s77
	s_mul_hi_u32 s2, s23, s76
	s_mul_hi_u32 s38, s25, s77
	s_add_u32 s37, s39, s37
	s_mul_i32 s42, s26, s78
	s_addc_u32 s2, s38, s2
	s_mul_hi_u32 s41, s26, s78
	s_add_u32 s37, s37, s42
	s_mul_i32 s44, s24, s18
	s_addc_u32 s2, s2, s41
	s_mul_hi_u32 s43, s24, s18
	s_add_u32 s37, s37, s44
	s_addc_u32 s2, s2, s43
	s_add_u32 s10, s37, s10
	s_addc_u32 s11, s2, s11
	s_mul_i32 s31, s16, vcc_lo
	s_mul_i32 s34, s20, s91
	s_and_b32 s2, s10, 0x3ffffff
	s_lshr_b64 s[10:11], s[10:11], 26
	s_mul_hi_u32 s27, s16, vcc_lo
	s_mul_hi_u32 s33, s20, s91
	s_add_u32 s31, s34, s31
	s_mul_i32 s36, s22, s92
	s_addc_u32 s27, s33, s27
	s_mul_hi_u32 s35, s22, s92
	s_add_u32 s31, s31, s36
	s_mul_i32 s1, s15, s88
	s_addc_u32 s27, s27, s35
	;; [unrolled: 4-line block ×4, first 2 shown]
	s_mul_hi_u32 s14, s40, s90
	s_add_u32 s1, s1, s21
	s_addc_u32 s0, s0, s14
	s_add_u32 s1, s1, s12
	s_mul_i32 s38, s2, 0x3d10
	s_addc_u32 s0, s0, s13
	s_mul_hi_u32 s37, s2, 0x3d10
	s_add_u32 s1, s1, s38
	s_addc_u32 s0, s0, s37
	s_add_u32 s8, s1, s8
	s_addc_u32 s9, s0, s9
	s_lshr_b64 s[12:13], s[8:9], 26
	s_lshl_b64 s[34:35], s[2:3], 10
	s_mul_i32 s36, s25, s76
	s_mul_i32 s43, s26, s77
	s_mul_hi_u32 s2, s25, s76
	s_mul_hi_u32 s37, s26, s77
	s_add_u32 s36, s43, s36
	s_mul_i32 s45, s24, s78
	s_addc_u32 s2, s37, s2
	s_mul_hi_u32 s44, s24, s78
	s_add_u32 s36, s36, s45
	s_addc_u32 s2, s2, s44
	s_add_u32 s10, s36, s10
	s_addc_u32 s11, s2, s11
	s_mul_i32 s27, s16, s90
	s_mul_i32 s33, s20, vcc_lo
	s_and_b32 s2, s10, 0x3ffffff
	s_lshr_b64 s[36:37], s[10:11], 26
	s_mul_hi_u32 s21, s16, s90
	s_mul_hi_u32 s31, s20, vcc_lo
	s_add_u32 s27, s33, s27
	s_mul_i32 s39, s22, s91
	s_addc_u32 s21, s31, s21
	s_mul_hi_u32 s38, s22, s91
	s_add_u32 s27, s27, s39
	s_mul_i32 s42, s23, s92
	s_addc_u32 s21, s21, s38
	s_mul_hi_u32 s41, s23, s92
	s_add_u32 s27, s27, s42
	s_mul_i32 s1, s15, s18
	s_addc_u32 s21, s21, s41
	s_mul_hi_u32 s0, s15, s18
	s_add_u32 s1, s27, s1
	s_mul_i32 s7, s17, s88
	s_addc_u32 s0, s21, s0
	s_mul_hi_u32 s5, s17, s88
	s_add_u32 s1, s1, s7
	s_mul_i32 s14, s40, s89
	s_addc_u32 s0, s0, s5
	s_mul_hi_u32 s9, s40, s89
	s_add_u32 s1, s1, s14
	s_addc_u32 s0, s0, s9
	s_add_u32 s1, s1, s34
	s_mul_i32 s11, s2, 0x3d10
	s_addc_u32 s0, s0, s35
	s_mul_hi_u32 s10, s2, 0x3d10
	s_add_u32 s1, s1, s11
	s_addc_u32 s0, s0, s10
	s_add_u32 s10, s1, s12
	s_addc_u32 s11, s0, s13
	s_lshr_b64 s[12:13], s[10:11], 26
	s_lshl_b64 s[34:35], s[2:3], 10
	s_mul_i32 s44, s26, s76
	s_mul_i32 s46, s24, s77
	s_mul_hi_u32 s2, s26, s76
	s_mul_hi_u32 s45, s24, s77
	s_add_u32 s44, s46, s44
	s_addc_u32 s2, s45, s2
	s_add_u32 s36, s44, s36
	s_addc_u32 s37, s2, s37
	s_mul_i32 s21, s16, s89
	s_mul_i32 s31, s20, s90
	s_and_b32 s2, s36, 0x3ffffff
	s_lshr_b64 s[36:37], s[36:37], 26
	s_mul_hi_u32 s14, s16, s89
	s_mul_hi_u32 s27, s20, s90
	s_add_u32 s21, s31, s21
	s_mul_i32 s38, s22, vcc_lo
	s_addc_u32 s14, s27, s14
	s_mul_hi_u32 s33, s22, vcc_lo
	s_add_u32 s21, s21, s38
	s_mul_i32 s41, s23, s91
	s_addc_u32 s14, s14, s33
	s_mul_hi_u32 s39, s23, s91
	s_add_u32 s21, s21, s41
	s_mul_i32 s43, s25, s92
	s_addc_u32 s14, s14, s39
	s_mul_hi_u32 s42, s25, s92
	;; [unrolled: 4-line block ×5, first 2 shown]
	s_add_u32 s1, s1, s11
	s_addc_u32 s0, s0, s9
	s_add_u32 s1, s1, s34
	s_mul_i32 s45, s2, 0x3d10
	s_addc_u32 s0, s0, s35
	s_mul_hi_u32 s44, s2, 0x3d10
	s_add_u32 s1, s1, s45
	s_addc_u32 s0, s0, s44
	s_add_u32 s12, s1, s12
	s_addc_u32 s13, s0, s13
	s_lshr_b64 s[34:35], s[12:13], 26
	s_lshl_b64 s[38:39], s[2:3], 10
	s_mul_hi_u32 s2, s24, s76
	s_mul_i32 s24, s24, s76
	s_mul_hi_u32 s11, s16, s88
	s_mul_i32 s13, s16, s88
	s_add_u32 s16, s36, s24
	s_mul_hi_u32 s1, s17, s78
	s_mul_i32 s5, s17, s78
	s_addc_u32 s17, s37, s2
	s_mul_hi_u32 s14, s20, s89
	s_mul_i32 s27, s20, s89
	s_and_b32 s2, s16, 0x3ffffff
	s_lshr_b64 s[20:21], s[16:17], 26
	s_add_u32 s13, s27, s13
	s_mul_hi_u32 s31, s22, s90
	s_mul_i32 s22, s22, s90
	s_addc_u32 s11, s14, s11
	s_add_u32 s13, s13, s22
	s_mul_hi_u32 s33, s23, vcc_lo
	s_mul_i32 s23, s23, vcc_lo
	s_addc_u32 s11, s11, s31
	s_add_u32 s13, s13, s23
	s_mul_hi_u32 s7, s40, s18
	s_mul_i32 s9, s40, s18
	s_mul_hi_u32 s40, s25, s91
	s_mul_i32 s25, s25, s91
	s_addc_u32 s11, s11, s33
	s_add_u32 s13, s13, s25
	s_mul_hi_u32 s41, s26, s92
	s_mul_i32 s26, s26, s92
	s_addc_u32 s11, s11, s40
	s_add_u32 s13, s13, s26
	s_mul_hi_u32 s0, s15, s77
	s_mul_i32 s15, s15, s77
	s_addc_u32 s11, s11, s41
	s_add_u32 s13, s13, s15
	s_addc_u32 s0, s11, s0
	s_add_u32 s5, s13, s5
	s_addc_u32 s0, s0, s1
	s_add_u32 s1, s5, s9
	;; [unrolled: 2-line block ×3, first 2 shown]
	s_mul_i32 s36, s2, 0x3d10
	s_addc_u32 s0, s0, s39
	s_mul_hi_u32 s24, s2, 0x3d10
	s_add_u32 s1, s1, s36
	s_addc_u32 s0, s0, s24
	v_mov_b32_e32 v0, s16
	s_add_u32 s14, s1, s34
	v_alignbit_b32 v0, s17, v0, 26
	s_addc_u32 s15, s0, s35
	v_readfirstlane_b32 s0, v0
	s_lshr_b64 s[22:23], s[14:15], 26
	s_lshl_b64 s[24:25], s[2:3], 10
	s_mul_hi_u32 s1, s0, 0x3d10
	s_mulk_i32 s0, 0x3d10
	s_add_u32 s0, s0, s19
	s_addc_u32 s1, s1, 0
	s_add_u32 s0, s0, s24
	s_addc_u32 s1, s1, s25
	;; [unrolled: 2-line block ×3, first 2 shown]
	s_lshr_b64 s[16:17], s[26:27], 22
	s_lshl_b64 s[20:21], s[20:21], 14
	s_add_u32 s16, s16, s20
	s_addc_u32 s17, s17, s21
	s_mul_i32 s0, s17, 0x3d1
	s_mul_hi_u32 s1, s16, 0x3d1
	s_add_i32 s1, s1, s0
	s_mul_i32 s0, s16, 0x3d1
	s_add_u32 s24, s0, s28
	s_addc_u32 s25, s1, 0
	s_lshr_b64 s[20:21], s[24:25], 26
	s_lshl_b64 s[16:17], s[16:17], 6
	s_add_u32 s0, s16, s29
	s_addc_u32 s1, s17, 0
	s_add_u32 s16, s0, s20
	s_addc_u32 s17, s1, s21
	s_lshr_b64 s[20:21], s[16:17], 26
	s_add_u32 s15, s20, s30
	s_mov_b32 s19, 3
.LBB0_5:                                ; =>This Inner Loop Header: Depth=1
	s_lshl_b32 s23, s4, 1
	s_lshl_b32 s27, s6, 1
	;; [unrolled: 1-line block ×4, first 2 shown]
	s_and_b32 s11, s10, 0x3ffffff
	s_and_b32 s2, s8, 0x3ffffff
	;; [unrolled: 1-line block ×6, first 2 shown]
	s_lshl_b32 s7, s15, 1
	s_and_b32 s5, s12, 0x3ffffff
	s_and_b32 s40, s20, 0x7fffffe
	s_and_b32 s39, s22, 0x7fffffe
	s_mul_i32 s33, s11, s38
	s_mul_i32 s61, s27, s2
	s_mul_hi_u32 s34, s11, s38
	s_mul_hi_u32 s35, s27, s2
	s_add_u32 s61, s33, s61
	s_mul_i32 s48, s5, s7
	s_addc_u32 s87, s34, s35
	s_mul_hi_u32 s26, s5, s7
	s_mul_hi_u32 s46, s2, s2
	s_mul_i32 s47, s2, s2
	s_mul_hi_u32 s51, s2, s7
	s_mul_i32 s52, s2, s7
	;; [unrolled: 2-line block ×5, first 2 shown]
	s_add_u32 s2, s61, s48
	s_mul_i32 s60, s9, s39
	s_addc_u32 s26, s87, s26
	s_mul_hi_u32 s59, s9, s39
	s_add_u32 s2, s2, s60
	s_mul_i32 s1, s13, s40
	s_addc_u32 s26, s26, s59
	s_mul_hi_u32 s0, s13, s40
	s_add_u32 s60, s2, s1
	s_addc_u32 s61, s26, s0
	s_mul_i32 s67, s11, s27
	s_and_b32 s26, s60, 0x3fffffe
	s_and_b32 s0, s24, 0x3ffffff
	s_lshr_b64 s[60:61], s[60:61], 26
	s_mul_hi_u32 s66, s11, s27
	s_add_u32 s2, s67, s47
	s_mul_i32 s65, s5, s38
	s_addc_u32 s24, s66, s46
	s_mul_hi_u32 s64, s5, s38
	s_add_u32 s2, s2, s65
	s_mul_i32 s45, s9, s7
	s_addc_u32 s24, s24, s64
	;; [unrolled: 4-line block ×3, first 2 shown]
	s_mul_hi_u32 s62, s13, s39
	s_add_u32 s2, s2, s63
	s_addc_u32 s23, s23, s62
	s_add_u32 s46, s2, s60
	s_addc_u32 s47, s23, s61
	s_and_b32 s2, s46, 0x3ffffff
	s_mul_hi_u32 s1, s0, s0
	s_mul_i32 s0, s0, s0
	s_lshr_b64 s[46:47], s[46:47], 26
	s_mul_i32 s24, s2, 0x3d10
	s_mul_hi_u32 s23, s2, 0x3d10
	s_add_u32 s60, s24, s0
	s_addc_u32 s61, s23, s1
	s_lshl_b32 s1, s8, 1
	s_and_b32 s1, s1, 0x7fffffe
	s_mul_hi_u32 s29, s11, s11
	s_mul_i32 s43, s11, s11
	s_mul_hi_u32 s20, s11, s7
	s_mul_i32 s22, s11, s7
	s_mul_i32 s71, s5, s27
	s_mul_hi_u32 s21, s11, s40
	s_mul_i32 s56, s11, s40
	s_mul_hi_u32 s54, s11, s39
	s_mul_i32 s55, s11, s39
	s_and_b32 s23, s60, 0x3fffffd
	s_lshl_b64 s[62:63], s[2:3], 10
	s_and_b32 s0, s16, 0x3ffffff
	s_lshr_b64 s[60:61], s[60:61], 26
	s_mul_hi_u32 s2, s1, s11
	s_mul_i32 s11, s1, s11
	s_mul_hi_u32 s70, s5, s27
	s_add_u32 s11, s71, s11
	s_mul_i32 s69, s9, s38
	s_addc_u32 s2, s70, s2
	s_mul_hi_u32 s68, s9, s38
	s_add_u32 s11, s11, s69
	s_mul_i32 s44, s13, s7
	s_addc_u32 s2, s2, s68
	s_mul_hi_u32 s28, s13, s7
	s_add_u32 s11, s11, s44
	s_addc_u32 s2, s2, s28
	s_add_u32 s44, s11, s46
	s_addc_u32 s45, s2, s47
	s_mul_i32 s16, s40, s0
	s_and_b32 s2, s44, 0x3ffffff
	s_lshr_b64 s[44:45], s[44:45], 26
	s_mul_hi_u32 s8, s40, s0
	s_add_u32 s16, s62, s16
	s_addc_u32 s8, s63, s8
	s_add_u32 s16, s16, s60
	s_mul_i32 s28, s2, 0x3d10
	s_addc_u32 s8, s8, s61
	s_mul_hi_u32 s11, s2, 0x3d10
	s_add_u32 s46, s16, s28
	s_addc_u32 s47, s8, s11
	s_mul_i32 s59, s5, s1
	s_and_b32 s28, s46, 0x3ffffff
	s_lshl_b64 s[60:61], s[2:3], 10
	s_lshr_b64 s[46:47], s[46:47], 26
	s_mul_hi_u32 s48, s5, s1
	s_add_u32 s2, s59, s43
	s_mul_i32 s80, s9, s27
	s_addc_u32 s8, s48, s29
	s_mul_hi_u32 s79, s9, s27
	s_add_u32 s2, s2, s80
	s_mul_i32 s75, s13, s38
	s_addc_u32 s8, s8, s79
	s_mul_hi_u32 s74, s13, s38
	s_add_u32 s2, s2, s75
	s_addc_u32 s8, s8, s74
	s_add_u32 s44, s2, s44
	s_addc_u32 s45, s8, s45
	s_mul_i32 s73, s15, s40
	s_mul_hi_u32 s24, s0, s0
	s_mul_i32 s0, s0, s0
	s_and_b32 s2, s44, 0x3ffffff
	s_lshr_b64 s[44:45], s[44:45], 26
	s_mul_hi_u32 s72, s15, s40
	s_add_u32 s0, s73, s0
	s_addc_u32 s16, s72, s24
	s_add_u32 s0, s0, s60
	s_mul_i32 s11, s2, 0x3d10
	s_addc_u32 s16, s16, s61
	s_mul_hi_u32 s8, s2, 0x3d10
	s_add_u32 s0, s0, s11
	s_addc_u32 s8, s16, s8
	s_add_u32 s46, s0, s46
	s_addc_u32 s47, s8, s47
	s_lshl_b64 s[60:61], s[2:3], 10
	s_lshl_b32 s2, s10, 1
	s_and_b32 s2, s2, 0x7fffffe
	s_mul_hi_u32 s17, s15, s15
	s_mul_i32 s25, s15, s15
	s_mul_hi_u32 s41, s5, s5
	s_mul_i32 s42, s5, s5
	;; [unrolled: 2-line block ×5, first 2 shown]
	s_mul_i32 s65, s9, s1
	s_and_b32 s29, s46, 0x3ffffff
	s_and_b32 s0, s4, 0x3ffffff
	s_lshr_b64 s[10:11], s[46:47], 26
	s_mul_hi_u32 s4, s2, s5
	s_mul_i32 s5, s2, s5
	s_mul_hi_u32 s64, s9, s1
	s_mul_hi_u32 s63, s9, s2
	s_mul_i32 s67, s9, s2
	s_mul_hi_u32 s68, s13, s2
	s_mul_i32 s69, s13, s2
	s_add_u32 s2, s65, s5
	s_mul_i32 s84, s13, s27
	s_addc_u32 s4, s64, s4
	s_mul_hi_u32 s83, s13, s27
	s_add_u32 s2, s2, s84
	s_addc_u32 s5, s4, s83
	s_add_u32 s4, s2, s44
	s_addc_u32 s5, s5, s45
	s_mul_i32 s16, s0, s40
	s_and_b32 s2, s4, 0x3ffffff
	s_lshr_b64 s[44:45], s[4:5], 26
	s_mul_hi_u32 s8, s0, s40
	s_add_u32 s16, s16, s82
	s_addc_u32 s8, s8, s81
	s_add_u32 s16, s16, s60
	s_mul_i32 s5, s2, 0x3d10
	s_addc_u32 s8, s8, s61
	s_mul_hi_u32 s4, s2, 0x3d10
	s_add_u32 s5, s16, s5
	s_addc_u32 s8, s8, s4
	s_add_u32 s4, s5, s10
	s_addc_u32 s5, s8, s11
	s_lshl_b64 s[10:11], s[2:3], 10
	s_and_b32 s2, s6, 0x3ffffff
	s_lshr_b64 s[46:47], s[4:5], 26
	s_mul_hi_u32 s24, s0, s39
	s_mul_i32 s43, s0, s39
	s_mul_hi_u32 s8, s2, s40
	s_mul_i32 s16, s2, s40
	;; [unrolled: 2-line block ×6, first 2 shown]
	s_add_u32 s2, s67, s42
	s_mul_hi_u32 s66, s13, s1
	s_mul_i32 s1, s13, s1
	s_addc_u32 s6, s63, s41
	s_add_u32 s1, s2, s1
	s_addc_u32 s2, s6, s66
	s_add_u32 s6, s1, s44
	s_mul_hi_u32 s48, s7, s0
	s_mul_i32 s59, s7, s0
	s_addc_u32 s7, s2, s45
	s_mul_hi_u32 s27, s9, s40
	s_mul_i32 s30, s9, s40
	s_and_b32 s2, s6, 0x3ffffff
	s_lshr_b64 s[40:41], s[6:7], 26
	s_add_u32 s7, s43, s25
	s_addc_u32 s17, s24, s17
	s_add_u32 s7, s7, s16
	s_addc_u32 s8, s17, s8
	s_add_u32 s7, s7, s10
	s_mul_i32 s6, s2, 0x3d10
	s_addc_u32 s8, s8, s11
	s_mul_hi_u32 s1, s2, 0x3d10
	s_add_u32 s6, s7, s6
	s_addc_u32 s1, s8, s1
	s_add_u32 s6, s6, s46
	s_addc_u32 s7, s1, s47
	s_lshl_b32 s1, s12, 1
	s_and_b32 s1, s1, 0x7fffffe
	s_lshl_b64 s[10:11], s[2:3], 10
	s_lshr_b64 s[16:17], s[6:7], 26
	s_mul_i32 s7, s1, s9
	s_mul_hi_u32 s2, s1, s9
	s_add_u32 s7, s69, s7
	s_addc_u32 s2, s68, s2
	s_add_u32 s8, s7, s40
	s_mul_hi_u32 s49, s9, s9
	s_mul_i32 s50, s9, s9
	s_addc_u32 s9, s2, s41
	s_and_b32 s2, s8, 0x3ffffff
	s_lshr_b64 s[24:25], s[8:9], 26
	s_add_u32 s9, s39, s59
	s_addc_u32 s39, s60, s48
	s_add_u32 s9, s9, s86
	s_addc_u32 s39, s39, s85
	s_add_u32 s9, s9, s10
	s_mul_i32 s8, s2, 0x3d10
	s_addc_u32 s10, s39, s11
	s_mul_hi_u32 s7, s2, 0x3d10
	s_add_u32 s8, s9, s8
	s_addc_u32 s7, s10, s7
	s_add_u32 s8, s8, s16
	s_addc_u32 s9, s7, s17
	s_mul_hi_u32 s12, s13, s1
	s_mul_i32 s1, s13, s1
	s_lshl_b64 s[10:11], s[2:3], 10
	s_lshr_b64 s[16:17], s[8:9], 26
	s_add_u32 s1, s1, s50
	s_addc_u32 s2, s12, s49
	s_add_u32 s24, s1, s24
	s_addc_u32 s25, s2, s25
	s_mul_hi_u32 s62, s0, s0
	s_mul_i32 s0, s0, s0
	s_and_b32 s2, s24, 0x3ffffff
	s_lshr_b64 s[24:25], s[24:25], 26
	s_add_u32 s0, s64, s0
	s_addc_u32 s9, s61, s62
	s_add_u32 s0, s0, s58
	s_addc_u32 s9, s9, s57
	;; [unrolled: 2-line block ×3, first 2 shown]
	s_add_u32 s0, s0, s10
	s_mul_i32 s7, s2, 0x3d10
	s_addc_u32 s9, s9, s11
	s_mul_hi_u32 s1, s2, 0x3d10
	s_add_u32 s0, s0, s7
	s_addc_u32 s1, s9, s1
	s_add_u32 s10, s0, s16
	s_addc_u32 s11, s1, s17
	s_lshl_b32 s0, s14, 1
	s_and_b32 s0, s0, 0x7fffffe
	s_lshl_b64 s[16:17], s[2:3], 10
	s_lshr_b64 s[40:41], s[10:11], 26
	s_mul_hi_u32 s1, s0, s13
	s_mul_i32 s0, s0, s13
	s_add_u32 s12, s24, s0
	s_mul_hi_u32 s36, s13, s13
	s_mul_i32 s37, s13, s13
	s_addc_u32 s13, s25, s1
	s_and_b32 s2, s12, 0x3ffffff
	s_lshr_b64 s[24:25], s[12:13], 26
	s_add_u32 s7, s52, s70
	s_addc_u32 s9, s51, s65
	s_add_u32 s7, s7, s55
	s_addc_u32 s9, s9, s54
	;; [unrolled: 2-line block ×3, first 2 shown]
	s_add_u32 s7, s7, s16
	s_mul_i32 s1, s2, 0x3d10
	s_addc_u32 s9, s9, s17
	s_mul_hi_u32 s0, s2, 0x3d10
	s_add_u32 s1, s7, s1
	s_addc_u32 s0, s9, s0
	s_add_u32 s12, s1, s40
	s_addc_u32 s13, s0, s41
	s_lshl_b64 s[16:17], s[2:3], 10
	s_lshr_b64 s[14:15], s[12:13], 26
	s_add_u32 s24, s24, s37
	s_addc_u32 s25, s25, s36
	s_and_b32 s2, s24, 0x3ffffff
	s_lshr_b64 s[36:37], s[24:25], 26
	s_add_u32 s7, s35, s38
	s_addc_u32 s5, s34, s5
	s_add_u32 s7, s7, s22
	s_addc_u32 s5, s5, s20
	;; [unrolled: 2-line block ×4, first 2 shown]
	s_add_u32 s7, s7, s16
	s_mul_i32 s1, s2, 0x3d10
	s_addc_u32 s5, s5, s17
	s_mul_hi_u32 s0, s2, 0x3d10
	s_add_u32 s1, s7, s1
	v_mov_b32_e32 v0, s24
	s_addc_u32 s0, s5, s0
	v_alignbit_b32 v0, s25, v0, 26
	s_add_u32 s14, s1, s14
	v_readfirstlane_b32 s9, v0
	s_addc_u32 s15, s0, s15
	s_mul_hi_u32 s11, s9, 0x3d10
	s_mulk_i32 s9, 0x3d10
	s_lshl_b64 s[16:17], s[2:3], 10
	s_lshr_b64 s[20:21], s[14:15], 26
	s_add_u32 s0, s9, s26
	s_addc_u32 s1, s11, 0
	s_add_u32 s0, s0, s16
	s_addc_u32 s1, s1, s17
	;; [unrolled: 2-line block ×3, first 2 shown]
	s_lshl_b64 s[16:17], s[36:37], 14
	s_lshr_b64 s[20:21], s[26:27], 22
	s_add_u32 s16, s20, s16
	s_addc_u32 s17, s21, s17
	s_mul_hi_u32 s0, s16, 0x3d1
	s_mul_i32 s2, s17, 0x3d1
	s_mul_i32 s1, s16, 0x3d1
	s_add_i32 s0, s0, s2
	s_add_u32 s24, s1, s23
	s_addc_u32 s25, s0, 0
	s_lshl_b64 s[16:17], s[16:17], 6
	s_lshr_b64 s[20:21], s[24:25], 26
	s_add_u32 s0, s16, s28
	s_addc_u32 s1, s17, 0
	s_add_u32 s16, s0, s20
	s_addc_u32 s17, s1, s21
	s_lshr_b64 s[20:21], s[16:17], 26
	s_add_i32 s19, s19, -1
	s_add_u32 s15, s20, s29
	s_cmp_lg_u32 s19, 0
	s_cbranch_scc1 .LBB0_5
; %bb.6:
	s_and_b32 s19, s4, 0x3ffffff
	s_and_b32 s20, s6, 0x3ffffff
	s_and_b32 s17, s24, 0x3ffffff
	s_and_b32 s16, s16, 0x3ffffff
	s_mul_i32 s9, s19, s18
	s_mul_i32 s11, s20, s88
	s_and_b32 s22, s8, 0x3ffffff
	s_and_b32 s23, s10, 0x3ffffff
	s_and_b32 s24, s12, 0x3ffffff
	s_and_b32 s25, s14, 0x3ffffff
	s_and_b32 s26, s26, 0x3fffff
	s_mul_hi_u32 s4, s19, s18
	s_mul_hi_u32 s6, s20, s88
	s_add_u32 s9, s11, s9
	s_mul_i32 s13, s22, s89
	s_addc_u32 s4, s6, s4
	s_mul_hi_u32 s8, s22, s89
	s_add_u32 s6, s9, s13
	s_mul_i32 s21, s23, s90
	s_addc_u32 s4, s4, s8
	s_mul_hi_u32 s10, s23, s90
	s_add_u32 s6, s6, s21
	s_mul_i32 s27, s24, vcc_lo
	s_addc_u32 s4, s4, s10
	s_mul_hi_u32 s12, s24, vcc_lo
	s_add_u32 s6, s6, s27
	s_mul_i32 s28, s25, s91
	s_addc_u32 s4, s4, s12
	s_mul_hi_u32 s14, s25, s91
	s_add_u32 s6, s6, s28
	s_mul_i32 s30, s26, s92
	s_addc_u32 s4, s4, s14
	s_mul_hi_u32 s29, s26, s92
	;; [unrolled: 4-line block ×5, first 2 shown]
	s_add_u32 s4, s1, s7
	s_addc_u32 s5, s0, s5
	s_and_b32 s14, s4, 0x3ffffff
	s_lshr_b64 s[4:5], s[4:5], 26
	s_mul_i32 s10, s19, s78
	s_mul_i32 s12, s20, s18
	s_mul_hi_u32 s9, s19, s78
	s_mul_hi_u32 s11, s20, s18
	s_add_u32 s10, s12, s10
	s_mul_i32 s21, s22, s88
	s_addc_u32 s9, s11, s9
	s_mul_hi_u32 s13, s22, s88
	s_add_u32 s10, s10, s21
	s_mul_i32 s28, s23, s89
	s_addc_u32 s9, s9, s13
	;; [unrolled: 4-line block ×3, first 2 shown]
	s_mul_hi_u32 s29, s24, s90
	s_add_u32 s10, s10, s30
	s_mul_i32 s33, s25, vcc_lo
	s_addc_u32 s9, s9, s29
	s_mul_hi_u32 s31, s25, vcc_lo
	s_add_u32 s10, s10, s33
	s_mul_i32 s35, s26, s91
	s_addc_u32 s9, s9, s31
	s_mul_hi_u32 s34, s26, s91
	s_add_u32 s10, s10, s35
	s_mul_i32 s6, s16, s76
	s_addc_u32 s9, s9, s34
	s_mul_hi_u32 s2, s16, s76
	;; [unrolled: 4-line block ×3, first 2 shown]
	s_add_u32 s6, s6, s8
	s_addc_u32 s2, s2, s7
	s_add_u32 s4, s6, s4
	s_addc_u32 s5, s2, s5
	s_and_b32 s2, s4, 0x3ffffff
	s_mul_i32 s1, s17, s92
	s_lshr_b64 s[4:5], s[4:5], 26
	s_mul_i32 s6, s2, 0x3d10
	s_mul_hi_u32 s0, s17, s92
	s_mul_hi_u32 s7, s2, 0x3d10
	s_add_u32 s6, s6, s1
	s_mov_b32 s3, 0
	s_addc_u32 s7, s7, s0
	s_and_b32 s27, s6, 0x3ffffff
	s_lshr_b64 s[6:7], s[6:7], 26
	s_lshl_b64 s[8:9], s[2:3], 10
	s_mul_i32 s21, s19, s77
	s_mul_i32 s29, s20, s78
	s_mul_hi_u32 s13, s19, s77
	s_mul_hi_u32 s28, s20, s78
	s_add_u32 s21, s29, s21
	s_mul_i32 s31, s22, s18
	s_addc_u32 s13, s28, s13
	s_mul_hi_u32 s30, s22, s18
	s_add_u32 s21, s21, s31
	s_mul_i32 s34, s23, s88
	s_addc_u32 s13, s13, s30
	;; [unrolled: 4-line block ×4, first 2 shown]
	s_mul_hi_u32 s37, s25, s90
	s_add_u32 s21, s21, s38
	s_mul_i32 s40, s26, vcc_lo
	s_addc_u32 s13, s13, s37
	s_mul_hi_u32 s39, s26, vcc_lo
	s_add_u32 s21, s21, s40
	s_mul_i32 s12, s15, s76
	s_addc_u32 s13, s13, s39
	s_mul_hi_u32 s2, s15, s76
	s_add_u32 s12, s21, s12
	s_addc_u32 s2, s13, s2
	s_add_u32 s4, s12, s4
	s_addc_u32 s5, s2, s5
	s_mul_i32 s1, s17, s91
	s_mul_i32 s11, s16, s92
	s_and_b32 s2, s4, 0x3ffffff
	s_lshr_b64 s[4:5], s[4:5], 26
	s_mul_hi_u32 s0, s17, s91
	s_mul_hi_u32 s10, s16, s92
	s_add_u32 s1, s11, s1
	s_addc_u32 s0, s10, s0
	s_add_u32 s1, s1, s8
	s_addc_u32 s0, s0, s9
	s_add_u32 s1, s1, s6
	s_mul_i32 s13, s2, 0x3d10
	s_addc_u32 s0, s0, s7
	s_mul_hi_u32 s12, s2, 0x3d10
	s_add_u32 s6, s1, s13
	s_addc_u32 s7, s0, s12
	s_and_b32 s30, s6, 0x3ffffff
	s_lshr_b64 s[6:7], s[6:7], 26
	s_lshl_b64 s[8:9], s[2:3], 10
	s_mul_i32 s21, s19, s76
	s_mul_i32 s29, s20, s77
	s_mul_hi_u32 s2, s19, s76
	s_mul_hi_u32 s28, s20, s77
	s_add_u32 s21, s29, s21
	s_mul_i32 s33, s22, s78
	s_addc_u32 s2, s28, s2
	s_mul_hi_u32 s31, s22, s78
	s_add_u32 s21, s21, s33
	s_mul_i32 s35, s23, s18
	s_addc_u32 s2, s2, s31
	;; [unrolled: 4-line block ×5, first 2 shown]
	s_mul_hi_u32 s40, s26, s90
	s_add_u32 s21, s21, s41
	s_addc_u32 s2, s2, s40
	s_add_u32 s4, s21, s4
	s_addc_u32 s5, s2, s5
	s_mul_i32 s1, s17, vcc_lo
	s_mul_i32 s11, s16, s91
	s_and_b32 s2, s4, 0x3ffffff
	s_lshr_b64 s[4:5], s[4:5], 26
	s_mul_hi_u32 s0, s17, vcc_lo
	s_mul_hi_u32 s10, s16, s91
	s_add_u32 s1, s11, s1
	s_mul_i32 s13, s15, s92
	s_addc_u32 s0, s10, s0
	s_mul_hi_u32 s12, s15, s92
	s_add_u32 s1, s1, s13
	s_addc_u32 s0, s0, s12
	s_add_u32 s1, s1, s8
	s_mul_i32 s28, s2, 0x3d10
	s_addc_u32 s0, s0, s9
	s_mul_hi_u32 s21, s2, 0x3d10
	s_add_u32 s1, s1, s28
	s_addc_u32 s0, s0, s21
	s_add_u32 s6, s1, s6
	s_addc_u32 s7, s0, s7
	s_and_b32 s31, s6, 0x3ffffff
	s_lshr_b64 s[6:7], s[6:7], 26
	s_lshl_b64 s[8:9], s[2:3], 10
	s_mul_i32 s10, s20, s76
	s_mul_i32 s34, s22, s77
	s_mul_hi_u32 s2, s20, s76
	s_mul_hi_u32 s11, s22, s77
	s_add_u32 s10, s34, s10
	s_mul_i32 s36, s23, s78
	s_addc_u32 s2, s11, s2
	s_mul_hi_u32 s35, s23, s78
	s_add_u32 s10, s10, s36
	s_mul_i32 s38, s24, s18
	s_addc_u32 s2, s2, s35
	;; [unrolled: 4-line block ×4, first 2 shown]
	s_mul_hi_u32 s41, s26, s89
	s_add_u32 s10, s10, s42
	s_addc_u32 s2, s2, s41
	s_add_u32 s4, s10, s4
	s_addc_u32 s5, s2, s5
	s_mul_i32 s1, s17, s90
	s_mul_i32 s33, s19, s92
	s_and_b32 s2, s4, 0x3ffffff
	s_lshr_b64 s[10:11], s[4:5], 26
	s_mul_hi_u32 s0, s17, s90
	s_mul_hi_u32 s29, s19, s92
	s_add_u32 s1, s1, s33
	s_mul_i32 s13, s16, vcc_lo
	s_addc_u32 s0, s0, s29
	s_mul_hi_u32 s12, s16, vcc_lo
	s_add_u32 s1, s1, s13
	s_mul_i32 s28, s15, s91
	s_addc_u32 s0, s0, s12
	s_mul_hi_u32 s21, s15, s91
	s_add_u32 s1, s1, s28
	s_addc_u32 s0, s0, s21
	s_add_u32 s1, s1, s8
	s_mul_i32 s5, s2, 0x3d10
	s_addc_u32 s0, s0, s9
	s_mul_hi_u32 s4, s2, 0x3d10
	s_add_u32 s1, s1, s5
	s_addc_u32 s0, s0, s4
	s_add_u32 s4, s1, s6
	s_addc_u32 s5, s0, s7
	s_lshr_b64 s[6:7], s[4:5], 26
	s_lshl_b64 s[8:9], s[2:3], 10
	s_mul_i32 s35, s22, s76
	s_mul_i32 s37, s23, s77
	s_mul_hi_u32 s2, s22, s76
	s_mul_hi_u32 s36, s23, s77
	s_add_u32 s35, s37, s35
	s_mul_i32 s39, s24, s78
	s_addc_u32 s2, s36, s2
	s_mul_hi_u32 s38, s24, s78
	s_add_u32 s35, s35, s39
	s_mul_i32 s41, s25, s18
	s_addc_u32 s2, s2, s38
	;; [unrolled: 4-line block ×3, first 2 shown]
	s_mul_hi_u32 s42, s26, s88
	s_add_u32 s35, s35, s43
	s_addc_u32 s2, s2, s42
	s_add_u32 s10, s35, s10
	s_addc_u32 s11, s2, s11
	s_mul_i32 s29, s19, s91
	s_mul_i32 s34, s20, s92
	s_and_b32 s2, s10, 0x3ffffff
	s_lshr_b64 s[10:11], s[10:11], 26
	s_mul_hi_u32 s28, s19, s91
	s_mul_hi_u32 s33, s20, s92
	s_add_u32 s29, s34, s29
	s_mul_i32 s1, s17, s89
	s_addc_u32 s28, s33, s28
	s_mul_hi_u32 s0, s17, s89
	s_add_u32 s1, s29, s1
	s_mul_i32 s12, s16, s90
	s_addc_u32 s0, s28, s0
	s_mul_hi_u32 s5, s16, s90
	s_add_u32 s1, s1, s12
	s_mul_i32 s21, s15, vcc_lo
	s_addc_u32 s0, s0, s5
	s_mul_hi_u32 s13, s15, vcc_lo
	s_add_u32 s1, s1, s21
	s_addc_u32 s0, s0, s13
	s_add_u32 s1, s1, s8
	s_mul_i32 s36, s2, 0x3d10
	s_addc_u32 s0, s0, s9
	s_mul_hi_u32 s35, s2, 0x3d10
	s_add_u32 s1, s1, s36
	s_addc_u32 s0, s0, s35
	s_add_u32 s6, s1, s6
	s_addc_u32 s7, s0, s7
	s_lshr_b64 s[8:9], s[6:7], 26
	s_lshl_b64 s[12:13], s[2:3], 10
	s_mul_i32 s38, s23, s76
	s_mul_i32 s40, s24, s77
	s_mul_hi_u32 s2, s23, s76
	s_mul_hi_u32 s39, s24, s77
	s_add_u32 s38, s40, s38
	s_mul_i32 s42, s25, s78
	s_addc_u32 s2, s39, s2
	s_mul_hi_u32 s41, s25, s78
	s_add_u32 s38, s38, s42
	s_mul_i32 s44, s26, s18
	s_addc_u32 s2, s2, s41
	s_mul_hi_u32 s43, s26, s18
	s_add_u32 s38, s38, s44
	s_addc_u32 s2, s2, s43
	s_add_u32 s10, s38, s10
	s_addc_u32 s11, s2, s11
	s_mul_i32 s33, s19, vcc_lo
	s_mul_i32 s35, s20, s91
	s_and_b32 s2, s10, 0x3ffffff
	s_lshr_b64 s[10:11], s[10:11], 26
	s_mul_hi_u32 s29, s19, vcc_lo
	s_mul_hi_u32 s34, s20, s91
	s_add_u32 s33, s35, s33
	s_mul_i32 s37, s22, s92
	s_addc_u32 s29, s34, s29
	s_mul_hi_u32 s36, s22, s92
	s_add_u32 s33, s33, s37
	s_mul_i32 s1, s17, s88
	s_addc_u32 s29, s29, s36
	;; [unrolled: 4-line block ×4, first 2 shown]
	s_mul_hi_u32 s21, s15, s90
	s_add_u32 s1, s1, s28
	s_addc_u32 s0, s0, s21
	s_add_u32 s1, s1, s12
	s_mul_i32 s39, s2, 0x3d10
	s_addc_u32 s0, s0, s13
	s_mul_hi_u32 s38, s2, 0x3d10
	s_add_u32 s1, s1, s39
	s_addc_u32 s0, s0, s38
	s_add_u32 s8, s1, s8
	s_addc_u32 s9, s0, s9
	s_lshr_b64 s[12:13], s[8:9], 26
	s_lshl_b64 s[28:29], s[2:3], 10
	s_mul_i32 s34, s24, s76
	s_mul_i32 s43, s25, s77
	s_mul_hi_u32 s2, s24, s76
	s_mul_hi_u32 s35, s25, s77
	s_add_u32 s34, s43, s34
	s_mul_i32 s45, s26, s78
	s_addc_u32 s2, s35, s2
	s_mul_hi_u32 s44, s26, s78
	s_add_u32 s34, s34, s45
	s_addc_u32 s2, s2, s44
	s_add_u32 s10, s34, s10
	s_addc_u32 s11, s2, s11
	s_mul_i32 s36, s19, s90
	s_mul_i32 s38, s20, vcc_lo
	s_and_b32 s2, s10, 0x3ffffff
	s_lshr_b64 s[34:35], s[10:11], 26
	s_mul_hi_u32 s33, s19, s90
	s_mul_hi_u32 s37, s20, vcc_lo
	s_add_u32 s36, s38, s36
	s_mul_i32 s40, s22, s91
	s_addc_u32 s33, s37, s33
	s_mul_hi_u32 s39, s22, s91
	s_add_u32 s36, s36, s40
	s_mul_i32 s42, s23, s92
	s_addc_u32 s33, s33, s39
	s_mul_hi_u32 s41, s23, s92
	;; [unrolled: 4-line block ×5, first 2 shown]
	s_add_u32 s1, s1, s21
	s_addc_u32 s0, s0, s9
	s_add_u32 s1, s1, s28
	s_mul_i32 s11, s2, 0x3d10
	s_addc_u32 s0, s0, s29
	s_mul_hi_u32 s10, s2, 0x3d10
	s_add_u32 s1, s1, s11
	s_addc_u32 s0, s0, s10
	s_add_u32 s10, s1, s12
	s_addc_u32 s11, s0, s13
	s_lshr_b64 s[12:13], s[10:11], 26
	s_lshl_b64 s[28:29], s[2:3], 10
	s_mul_i32 s44, s25, s76
	s_mul_i32 s46, s26, s77
	s_mul_hi_u32 s2, s25, s76
	s_mul_hi_u32 s45, s26, s77
	s_add_u32 s44, s46, s44
	s_addc_u32 s2, s45, s2
	s_add_u32 s34, s44, s34
	s_addc_u32 s35, s2, s35
	s_mul_i32 s33, s19, s89
	s_mul_i32 s37, s20, s90
	s_and_b32 s2, s34, 0x3ffffff
	s_lshr_b64 s[34:35], s[34:35], 26
	s_mul_hi_u32 s21, s19, s89
	s_mul_hi_u32 s36, s20, s90
	s_add_u32 s33, s37, s33
	s_mul_i32 s39, s22, vcc_lo
	s_addc_u32 s21, s36, s21
	s_mul_hi_u32 s38, s22, vcc_lo
	s_add_u32 s33, s33, s39
	s_mul_i32 s41, s23, s91
	s_addc_u32 s21, s21, s38
	s_mul_hi_u32 s40, s23, s91
	s_add_u32 s33, s33, s41
	s_mul_i32 s43, s24, s92
	s_addc_u32 s21, s21, s40
	s_mul_hi_u32 s42, s24, s92
	;; [unrolled: 4-line block ×5, first 2 shown]
	s_add_u32 s1, s1, s11
	v_writelane_b32 v15, s95, 24
	s_addc_u32 s0, s0, s9
	v_writelane_b32 v15, s94, 25
	s_add_u32 s1, s1, s28
	v_writelane_b32 v15, s93, 26
	s_mul_i32 s45, s2, 0x3d10
	s_addc_u32 s0, s0, s29
	s_mul_hi_u32 s44, s2, 0x3d10
	s_add_u32 s1, s1, s45
	v_writelane_b32 v15, s18, 27
	s_addc_u32 s0, s0, s44
	v_writelane_b32 v15, s88, 28
	s_add_u32 s12, s1, s12
	v_writelane_b32 v15, s89, 29
	s_addc_u32 s13, s0, s13
	s_lshl_b64 s[36:37], s[2:3], 10
	v_writelane_b32 v15, s90, 30
	s_mov_b32 s2, vcc_lo
	v_writelane_b32 v15, s2, 31
	s_lshr_b64 s[28:29], s[12:13], 26
	v_writelane_b32 v15, s3, 32
	s_mul_hi_u32 s2, s26, s76
	s_mul_i32 s26, s26, s76
	s_mul_hi_u32 s11, s20, s89
	s_mul_i32 s13, s20, s89
	s_add_u32 s20, s34, s26
	s_addc_u32 s21, s35, s2
	s_mul_hi_u32 s5, s15, s18
	s_mul_i32 s7, s15, s18
	s_mul_hi_u32 s9, s19, s88
	s_mul_i32 s19, s19, s88
	;; [unrolled: 2-line block ×3, first 2 shown]
	s_mul_hi_u32 s38, s23, vcc_lo
	s_mul_i32 s39, s23, vcc_lo
	s_and_b32 s2, s20, 0x3ffffff
	s_lshr_b64 s[22:23], s[20:21], 26
	s_add_u32 s13, s13, s19
	s_addc_u32 s9, s11, s9
	s_add_u32 s11, s13, s33
	s_addc_u32 s9, s9, s15
	s_add_u32 s11, s11, s39
	s_mul_hi_u32 s40, s24, s91
	s_mul_i32 s24, s24, s91
	s_addc_u32 s9, s9, s38
	s_add_u32 s11, s11, s24
	s_mul_hi_u32 s41, s25, s92
	s_mul_i32 s25, s25, s92
	;; [unrolled: 4-line block ×4, first 2 shown]
	s_addc_u32 s0, s9, s0
	s_add_u32 s9, s11, s16
	s_addc_u32 s0, s0, s1
	s_add_u32 s1, s9, s7
	;; [unrolled: 2-line block ×3, first 2 shown]
	s_mul_i32 s34, s2, 0x3d10
	s_addc_u32 s0, s0, s37
	s_mul_hi_u32 s26, s2, 0x3d10
	s_add_u32 s1, s1, s34
	s_addc_u32 s0, s0, s26
	v_mov_b32_e32 v0, s20
	s_add_u32 s16, s1, s28
	v_alignbit_b32 v0, s21, v0, 26
	s_addc_u32 s17, s0, s29
	v_readfirstlane_b32 s0, v0
	s_lshr_b64 s[24:25], s[16:17], 26
	s_lshl_b64 s[28:29], s[2:3], 10
	s_mul_hi_u32 s1, s0, 0x3d10
	s_mulk_i32 s0, 0x3d10
	s_add_u32 s0, s0, s14
	s_addc_u32 s1, s1, 0
	s_add_u32 s0, s0, s28
	s_addc_u32 s1, s1, s29
	;; [unrolled: 2-line block ×3, first 2 shown]
	s_lshr_b64 s[14:15], s[28:29], 22
	s_lshl_b64 s[20:21], s[22:23], 14
	s_add_u32 s14, s14, s20
	s_addc_u32 s15, s15, s21
	s_mul_i32 s0, s15, 0x3d1
	s_mul_hi_u32 s1, s14, 0x3d1
	s_add_i32 s1, s1, s0
	s_mul_i32 s0, s14, 0x3d1
	s_add_u32 s26, s0, s27
	s_addc_u32 s27, s1, 0
	s_lshr_b64 s[20:21], s[26:27], 26
	s_lshl_b64 s[14:15], s[14:15], 6
	s_add_u32 s0, s14, s30
	s_addc_u32 s1, s15, 0
	s_add_u32 s24, s0, s20
	s_addc_u32 s25, s1, s21
	s_lshr_b64 s[14:15], s[24:25], 26
	v_writelane_b32 v15, s91, 33
	s_add_u32 s7, s14, s31
	s_mov_b64 s[14:15], -1
	v_writelane_b32 v15, s92, 34
.LBB0_7:                                ; =>This Inner Loop Header: Depth=1
	s_and_b32 s13, s28, 0x3fffff
	s_lshl_b32 s22, s4, 1
	s_lshl_b32 s28, s6, 1
	;; [unrolled: 1-line block ×4, first 2 shown]
	s_and_b32 s17, s10, 0x3ffffff
	s_and_b32 s2, s8, 0x3ffffff
	;; [unrolled: 1-line block ×5, first 2 shown]
	s_lshl_b32 s11, s7, 1
	s_and_b32 s5, s12, 0x3ffffff
	s_and_b32 s41, s19, 0x7fffffe
	;; [unrolled: 1-line block ×3, first 2 shown]
	s_mul_i32 s33, s17, s39
	s_mul_i32 s62, s28, s2
	s_mul_hi_u32 s34, s17, s39
	s_mul_hi_u32 s36, s28, s2
	s_add_u32 s62, s33, s62
	s_mul_i32 s35, s5, s11
	s_addc_u32 s87, s34, s36
	s_mul_hi_u32 s23, s5, s11
	s_add_u32 s62, s62, s35
	s_mul_hi_u32 s47, s2, s2
	s_mul_i32 s48, s2, s2
	s_mul_hi_u32 s51, s2, s11
	s_mul_i32 s52, s2, s11
	s_mul_i32 s61, s9, s40
	s_mul_hi_u32 s85, s2, s41
	s_mul_i32 s86, s2, s41
	s_mul_hi_u32 s58, s2, s40
	;; [unrolled: 2-line block ×3, first 2 shown]
	s_mul_i32 s36, s2, s39
	s_addc_u32 s2, s87, s23
	s_mul_hi_u32 s60, s9, s40
	s_add_u32 s23, s62, s61
	s_mul_i32 s1, s13, s41
	s_addc_u32 s2, s2, s60
	s_mul_hi_u32 s0, s13, s41
	s_add_u32 s60, s23, s1
	s_addc_u32 s61, s2, s0
	s_mul_i32 s68, s17, s28
	s_and_b32 s23, s60, 0x3fffffe
	s_and_b32 s0, s26, 0x3ffffff
	s_lshr_b64 s[60:61], s[60:61], 26
	s_mul_hi_u32 s67, s17, s28
	s_add_u32 s2, s68, s48
	s_mul_i32 s66, s5, s39
	s_addc_u32 s26, s67, s47
	s_mul_hi_u32 s65, s5, s39
	s_add_u32 s2, s2, s66
	s_mul_i32 s46, s9, s11
	s_addc_u32 s26, s26, s65
	;; [unrolled: 4-line block ×3, first 2 shown]
	s_mul_hi_u32 s63, s13, s40
	s_add_u32 s2, s2, s64
	s_addc_u32 s22, s22, s63
	s_add_u32 s46, s2, s60
	s_addc_u32 s47, s22, s61
	s_and_b32 s2, s46, 0x3ffffff
	s_mul_hi_u32 s1, s0, s0
	s_mul_i32 s0, s0, s0
	s_lshr_b64 s[46:47], s[46:47], 26
	s_mul_i32 s26, s2, 0x3d10
	s_mul_hi_u32 s22, s2, 0x3d10
	s_add_u32 s60, s26, s0
	s_addc_u32 s61, s22, s1
	s_lshl_b32 s1, s8, 1
	s_and_b32 s1, s1, 0x7fffffe
	s_mul_hi_u32 s31, s17, s17
	s_mul_i32 s44, s17, s17
	s_mul_hi_u32 s19, s17, s11
	s_mul_i32 s20, s17, s11
	s_mul_i32 s72, s5, s28
	s_mul_hi_u32 s21, s17, s41
	s_mul_i32 s57, s17, s41
	s_mul_hi_u32 s55, s17, s40
	s_mul_i32 s56, s17, s40
	s_and_b32 s22, s60, 0x3fffffd
	s_lshl_b64 s[62:63], s[2:3], 10
	s_and_b32 s0, s24, 0x3ffffff
	s_lshr_b64 s[60:61], s[60:61], 26
	s_mul_hi_u32 s2, s1, s17
	s_mul_i32 s17, s1, s17
	s_mul_hi_u32 s71, s5, s28
	s_add_u32 s17, s72, s17
	s_mul_i32 s70, s9, s39
	s_addc_u32 s2, s71, s2
	s_mul_hi_u32 s69, s9, s39
	s_add_u32 s17, s17, s70
	s_mul_i32 s45, s13, s11
	s_addc_u32 s2, s2, s69
	s_mul_hi_u32 s30, s13, s11
	s_add_u32 s17, s17, s45
	s_addc_u32 s2, s2, s30
	s_add_u32 s46, s17, s46
	s_addc_u32 s47, s2, s47
	s_mul_i32 s24, s41, s0
	s_and_b32 s2, s46, 0x3ffffff
	s_lshr_b64 s[46:47], s[46:47], 26
	s_mul_hi_u32 s8, s41, s0
	s_add_u32 s24, s62, s24
	s_addc_u32 s8, s63, s8
	s_add_u32 s24, s24, s60
	s_mul_i32 s30, s2, 0x3d10
	s_addc_u32 s8, s8, s61
	s_mul_hi_u32 s17, s2, 0x3d10
	s_add_u32 s60, s24, s30
	s_addc_u32 s61, s8, s17
	s_mul_i32 s64, s5, s1
	s_and_b32 s30, s60, 0x3ffffff
	s_lshl_b64 s[62:63], s[2:3], 10
	s_lshr_b64 s[60:61], s[60:61], 26
	s_mul_hi_u32 s48, s5, s1
	s_add_u32 s2, s64, s44
	s_mul_i32 s81, s9, s28
	s_addc_u32 s8, s48, s31
	s_mul_hi_u32 s80, s9, s28
	s_add_u32 s2, s2, s81
	s_mul_i32 s79, s13, s39
	s_addc_u32 s8, s8, s80
	s_mul_hi_u32 s75, s13, s39
	s_add_u32 s2, s2, s79
	s_addc_u32 s8, s8, s75
	s_add_u32 s44, s2, s46
	s_addc_u32 s45, s8, s47
	s_mul_i32 s74, s7, s41
	s_mul_hi_u32 s26, s0, s0
	s_mul_i32 s0, s0, s0
	s_and_b32 s2, s44, 0x3ffffff
	s_lshr_b64 s[44:45], s[44:45], 26
	s_mul_hi_u32 s73, s7, s41
	s_add_u32 s0, s74, s0
	s_addc_u32 s24, s73, s26
	s_add_u32 s0, s0, s62
	s_mul_i32 s17, s2, 0x3d10
	s_addc_u32 s24, s24, s63
	s_mul_hi_u32 s8, s2, 0x3d10
	s_add_u32 s0, s0, s17
	s_addc_u32 s8, s24, s8
	s_add_u32 s46, s0, s60
	s_addc_u32 s47, s8, s61
	s_lshl_b64 s[60:61], s[2:3], 10
	s_lshl_b32 s2, s10, 1
	s_and_b32 s2, s2, 0x7fffffe
	s_mul_hi_u32 s42, s5, s5
	s_mul_i32 s43, s5, s5
	s_mul_hi_u32 s53, s5, s41
	s_mul_i32 s54, s5, s41
	;; [unrolled: 2-line block ×3, first 2 shown]
	s_mul_i32 s66, s9, s1
	s_and_b32 s31, s46, 0x3ffffff
	s_and_b32 s0, s4, 0x3ffffff
	s_lshr_b64 s[46:47], s[46:47], 26
	s_mul_hi_u32 s4, s2, s5
	s_mul_i32 s5, s2, s5
	s_mul_hi_u32 s65, s9, s1
	s_mul_hi_u32 s26, s9, s2
	s_mul_i32 s64, s9, s2
	s_mul_hi_u32 s68, s13, s2
	s_mul_i32 s69, s13, s2
	s_add_u32 s2, s66, s5
	s_mul_i32 s84, s13, s28
	s_addc_u32 s4, s65, s4
	s_mul_hi_u32 s83, s13, s28
	s_add_u32 s2, s2, s84
	s_addc_u32 s5, s4, s83
	s_add_u32 s4, s2, s44
	s_addc_u32 s5, s5, s45
	s_mul_hi_u32 s25, s7, s7
	s_mul_i32 s27, s7, s7
	s_mul_hi_u32 s82, s40, s7
	s_mul_i32 s7, s40, s7
	s_mul_i32 s10, s0, s41
	s_and_b32 s2, s4, 0x3ffffff
	s_lshr_b64 s[44:45], s[4:5], 26
	s_mul_hi_u32 s8, s0, s41
	s_add_u32 s7, s10, s7
	s_addc_u32 s8, s8, s82
	s_add_u32 s7, s7, s60
	s_mul_i32 s5, s2, 0x3d10
	s_addc_u32 s8, s8, s61
	s_mul_hi_u32 s4, s2, 0x3d10
	s_add_u32 s5, s7, s5
	s_addc_u32 s7, s8, s4
	s_add_u32 s4, s5, s46
	s_addc_u32 s5, s7, s47
	s_lshl_b64 s[46:47], s[2:3], 10
	s_and_b32 s2, s6, 0x3ffffff
	s_lshr_b64 s[6:7], s[4:5], 26
	s_mul_hi_u32 s28, s9, s41
	s_mul_i32 s29, s9, s41
	s_mul_hi_u32 s17, s0, s40
	s_mul_i32 s24, s0, s40
	s_mul_hi_u32 s8, s2, s41
	s_mul_i32 s41, s2, s41
	s_mul_hi_u32 s60, s2, s40
	s_mul_i32 s40, s2, s40
	s_mul_hi_u32 s61, s2, s11
	s_mul_i32 s65, s2, s11
	s_mul_hi_u32 s66, s39, s2
	s_mul_i32 s70, s39, s2
	s_mul_hi_u32 s5, s2, s2
	s_mul_i32 s39, s2, s2
	s_add_u32 s2, s64, s43
	s_mul_hi_u32 s67, s13, s1
	s_mul_i32 s1, s13, s1
	s_addc_u32 s10, s26, s42
	s_add_u32 s1, s2, s1
	s_addc_u32 s2, s10, s67
	s_add_u32 s10, s1, s44
	s_mul_hi_u32 s48, s11, s0
	s_mul_i32 s62, s11, s0
	s_addc_u32 s11, s2, s45
	s_and_b32 s2, s10, 0x3ffffff
	s_lshr_b64 s[10:11], s[10:11], 26
	s_add_u32 s24, s24, s27
	s_addc_u32 s17, s17, s25
	s_add_u32 s24, s24, s41
	s_addc_u32 s8, s17, s8
	s_add_u32 s17, s24, s46
	s_mul_i32 s26, s2, 0x3d10
	s_addc_u32 s8, s8, s47
	s_mul_hi_u32 s1, s2, 0x3d10
	s_add_u32 s17, s17, s26
	s_addc_u32 s1, s8, s1
	s_add_u32 s6, s17, s6
	s_addc_u32 s7, s1, s7
	s_lshl_b32 s1, s12, 1
	s_and_b32 s1, s1, 0x7fffffe
	s_lshl_b64 s[24:25], s[2:3], 10
	s_lshr_b64 s[26:27], s[6:7], 26
	s_mul_i32 s7, s1, s9
	s_mul_hi_u32 s2, s1, s9
	s_add_u32 s7, s69, s7
	s_addc_u32 s2, s68, s2
	s_add_u32 s8, s7, s10
	s_mul_hi_u32 s49, s9, s9
	s_mul_i32 s50, s9, s9
	s_addc_u32 s9, s2, s11
	s_and_b32 s2, s8, 0x3ffffff
	s_lshr_b64 s[10:11], s[8:9], 26
	s_add_u32 s9, s40, s62
	s_addc_u32 s17, s60, s48
	s_add_u32 s9, s9, s86
	s_addc_u32 s17, s17, s85
	s_add_u32 s9, s9, s24
	s_mul_i32 s8, s2, 0x3d10
	s_addc_u32 s17, s17, s25
	s_mul_hi_u32 s7, s2, 0x3d10
	s_add_u32 s8, s9, s8
	s_addc_u32 s7, s17, s7
	s_add_u32 s8, s8, s26
	s_addc_u32 s9, s7, s27
	s_mul_hi_u32 s12, s13, s1
	s_mul_i32 s1, s13, s1
	s_lshl_b64 s[24:25], s[2:3], 10
	s_lshr_b64 s[26:27], s[8:9], 26
	s_add_u32 s1, s1, s50
	s_addc_u32 s2, s12, s49
	s_add_u32 s10, s1, s10
	s_addc_u32 s11, s2, s11
	s_mul_hi_u32 s63, s0, s0
	s_mul_i32 s0, s0, s0
	s_and_b32 s2, s10, 0x3ffffff
	s_lshr_b64 s[40:41], s[10:11], 26
	s_add_u32 s0, s65, s0
	s_addc_u32 s9, s61, s63
	s_add_u32 s0, s0, s59
	s_addc_u32 s9, s9, s58
	;; [unrolled: 2-line block ×3, first 2 shown]
	s_add_u32 s0, s0, s24
	s_mul_i32 s7, s2, 0x3d10
	s_addc_u32 s9, s9, s25
	s_mul_hi_u32 s1, s2, 0x3d10
	s_add_u32 s0, s0, s7
	s_addc_u32 s1, s9, s1
	s_add_u32 s10, s0, s26
	s_addc_u32 s11, s1, s27
	s_lshl_b32 s0, s16, 1
	s_and_b32 s0, s0, 0x7fffffe
	s_lshl_b64 s[24:25], s[2:3], 10
	s_lshr_b64 s[16:17], s[10:11], 26
	s_mul_hi_u32 s1, s0, s13
	s_mul_i32 s0, s0, s13
	s_add_u32 s12, s40, s0
	s_mul_hi_u32 s37, s13, s13
	s_mul_i32 s38, s13, s13
	s_addc_u32 s13, s41, s1
	s_and_b32 s2, s12, 0x3ffffff
	s_lshr_b64 s[26:27], s[12:13], 26
	s_add_u32 s7, s52, s70
	s_addc_u32 s9, s51, s66
	s_add_u32 s7, s7, s56
	s_addc_u32 s9, s9, s55
	;; [unrolled: 2-line block ×3, first 2 shown]
	s_add_u32 s7, s7, s24
	s_mul_i32 s1, s2, 0x3d10
	s_addc_u32 s9, s9, s25
	s_mul_hi_u32 s0, s2, 0x3d10
	s_add_u32 s1, s7, s1
	s_addc_u32 s0, s9, s0
	s_add_u32 s12, s1, s16
	s_addc_u32 s13, s0, s17
	s_lshl_b64 s[24:25], s[2:3], 10
	s_lshr_b64 s[16:17], s[12:13], 26
	s_add_u32 s26, s26, s38
	s_addc_u32 s27, s27, s37
	s_and_b32 s2, s26, 0x3ffffff
	s_lshr_b64 s[40:41], s[26:27], 26
	s_add_u32 s7, s36, s39
	s_addc_u32 s5, s35, s5
	s_add_u32 s7, s7, s20
	s_addc_u32 s5, s5, s19
	;; [unrolled: 2-line block ×4, first 2 shown]
	s_add_u32 s7, s7, s24
	s_mul_i32 s1, s2, 0x3d10
	s_addc_u32 s5, s5, s25
	s_mul_hi_u32 s0, s2, 0x3d10
	s_add_u32 s1, s7, s1
	v_mov_b32_e32 v0, s26
	s_addc_u32 s0, s5, s0
	v_alignbit_b32 v0, s27, v0, 26
	s_add_u32 s16, s1, s16
	v_readfirstlane_b32 s9, v0
	s_addc_u32 s17, s0, s17
	s_mul_hi_u32 s11, s9, 0x3d10
	s_mulk_i32 s9, 0x3d10
	s_lshl_b64 s[20:21], s[2:3], 10
	s_lshr_b64 s[24:25], s[16:17], 26
	s_add_u32 s0, s9, s23
	s_addc_u32 s1, s11, 0
	s_add_u32 s0, s0, s20
	s_addc_u32 s1, s1, s21
	;; [unrolled: 2-line block ×3, first 2 shown]
	s_lshl_b64 s[20:21], s[40:41], 14
	s_lshr_b64 s[24:25], s[28:29], 22
	s_add_u32 s20, s24, s20
	s_addc_u32 s21, s25, s21
	s_mul_hi_u32 s0, s20, 0x3d1
	s_mul_i32 s2, s21, 0x3d1
	s_mul_i32 s1, s20, 0x3d1
	s_add_i32 s0, s0, s2
	s_add_u32 s26, s1, s22
	s_addc_u32 s27, s0, 0
	s_lshl_b64 s[20:21], s[20:21], 6
	s_lshr_b64 s[22:23], s[26:27], 26
	s_add_u32 s0, s20, s30
	s_addc_u32 s1, s21, 0
	s_add_u32 s24, s0, s22
	s_addc_u32 s25, s1, s23
	s_lshr_b64 s[20:21], s[24:25], 26
	s_and_b64 vcc, exec, s[14:15]
	s_mov_b64 s[14:15], 0
	s_add_u32 s7, s20, s31
	s_cbranch_vccnz .LBB0_7
; %bb.8:
	s_and_b32 s25, s12, 0x3ffffff
	v_readlane_b32 s52, v15, 6
	v_readlane_b32 s51, v15, 7
	s_and_b32 s20, s4, 0x3ffffff
	v_readlane_b32 s55, v15, 11
	s_and_b32 s22, s6, 0x3ffffff
	v_readlane_b32 s56, v15, 12
	s_mul_i32 s12, s25, s52
	s_mul_hi_u32 s21, s25, s51
	s_and_b32 s17, s26, 0x3ffffff
	s_and_b32 s19, s24, 0x3ffffff
	s_mul_i32 s11, s20, s55
	s_mul_i32 s13, s22, s56
	s_and_b32 s24, s8, 0x3ffffff
	s_and_b32 s23, s10, 0x3ffffff
	s_add_i32 s21, s21, s12
	s_and_b32 s16, s16, 0x3ffffff
	s_and_b32 s26, s28, 0x3fffff
	s_mul_hi_u32 s4, s20, s55
	s_mul_hi_u32 s6, s22, s56
	v_readlane_b32 s60, v15, 13
	s_add_u32 s11, s13, s11
	s_mul_i32 s14, s24, s60
	s_addc_u32 s4, s6, s4
	s_mul_hi_u32 s8, s24, s60
	v_readlane_b32 s59, v15, 8
	s_add_u32 s6, s11, s14
	s_mul_i32 s15, s23, s59
	s_addc_u32 s4, s4, s8
	s_mul_hi_u32 s10, s23, s59
	s_add_u32 s6, s6, s15
	s_mul_i32 s12, s25, s51
	s_addc_u32 s4, s4, s10
	v_readlane_b32 s58, v15, 5
	s_add_u32 s6, s6, s12
	s_mul_i32 s29, s16, s58
	s_addc_u32 s4, s4, s21
	s_mul_hi_u32 s27, s16, s58
	v_readlane_b32 s57, v15, 4
	s_add_u32 s6, s6, s29
	s_mul_i32 s30, s26, s57
	s_addc_u32 s4, s4, s27
	v_readlane_b32 s18, v15, 14
	s_mul_hi_u32 s28, s26, s57
	s_add_u32 s6, s6, s30
	s_mul_i32 s1, s17, s18
	s_addc_u32 s4, s4, s28
	s_mul_hi_u32 s0, s17, s18
	v_readlane_b32 s53, v15, 9
	s_add_u32 s1, s6, s1
	s_mul_i32 s3, s19, s53
	s_addc_u32 s0, s4, s0
	s_mul_hi_u32 s2, s19, s53
	v_readlane_b32 s54, v15, 10
	s_add_u32 s1, s1, s3
	s_mul_i32 s9, s7, s54
	s_addc_u32 s0, s0, s2
	s_mul_hi_u32 s5, s7, s54
	s_add_u32 s4, s1, s9
	s_addc_u32 s5, s0, s5
	s_mul_i32 s31, s16, s52
	s_mul_hi_u32 s33, s16, s51
	s_and_b32 s6, s4, 0x3ffffff
	s_lshr_b64 s[4:5], s[4:5], 26
	s_mul_i32 s12, s20, s54
	s_mul_i32 s14, s22, s55
	s_add_i32 s33, s33, s31
	s_mul_hi_u32 s11, s20, s54
	s_mul_hi_u32 s13, s22, s55
	s_add_u32 s12, s14, s12
	s_mul_i32 s21, s24, s56
	s_addc_u32 s11, s13, s11
	s_mul_hi_u32 s15, s24, s56
	s_add_u32 s12, s12, s21
	s_mul_i32 s28, s23, s60
	s_addc_u32 s11, s11, s15
	;; [unrolled: 4-line block ×4, first 2 shown]
	s_add_u32 s12, s12, s31
	s_mul_i32 s35, s26, s58
	s_addc_u32 s11, s11, s33
	s_mul_hi_u32 s34, s26, s58
	s_add_u32 s12, s12, s35
	s_mul_i32 s8, s19, s18
	s_addc_u32 s11, s11, s34
	s_mul_hi_u32 s2, s19, s18
	s_add_u32 s8, s12, s8
	s_mul_i32 s10, s7, s53
	s_addc_u32 s2, s11, s2
	s_mul_hi_u32 s9, s7, s53
	s_add_u32 s8, s8, s10
	s_addc_u32 s2, s2, s9
	s_add_u32 s4, s8, s4
	s_addc_u32 s5, s2, s5
	s_and_b32 s2, s4, 0x3ffffff
	s_mul_i32 s1, s17, s57
	s_lshr_b64 s[4:5], s[4:5], 26
	s_mul_i32 s8, s2, 0x3d10
	s_mul_hi_u32 s0, s17, s57
	s_mul_hi_u32 s9, s2, 0x3d10
	s_add_u32 s8, s8, s1
	s_mov_b32 s3, 0
	s_addc_u32 s9, s9, s0
	s_mul_i32 s39, s26, s52
	s_mul_hi_u32 s40, s26, s51
	s_and_b32 s27, s8, 0x3ffffff
	s_lshr_b64 s[8:9], s[8:9], 26
	s_lshl_b64 s[10:11], s[2:3], 10
	s_mul_i32 s21, s20, s53
	s_mul_i32 s29, s22, s54
	s_add_i32 s40, s40, s39
	s_mul_hi_u32 s15, s20, s53
	s_mul_hi_u32 s28, s22, s54
	s_add_u32 s21, s29, s21
	s_mul_i32 s31, s24, s55
	s_addc_u32 s15, s28, s15
	s_mul_hi_u32 s30, s24, s55
	s_add_u32 s21, s21, s31
	s_mul_i32 s34, s23, s56
	s_addc_u32 s15, s15, s30
	;; [unrolled: 4-line block ×5, first 2 shown]
	s_add_u32 s21, s21, s39
	s_mul_i32 s14, s7, s18
	s_addc_u32 s15, s15, s40
	s_mul_hi_u32 s2, s7, s18
	s_add_u32 s14, s21, s14
	s_addc_u32 s2, s15, s2
	s_add_u32 s4, s14, s4
	s_addc_u32 s5, s2, s5
	s_mul_i32 s1, s17, s58
	s_mul_i32 s13, s19, s57
	s_and_b32 s2, s4, 0x3ffffff
	s_lshr_b64 s[4:5], s[4:5], 26
	s_mul_hi_u32 s0, s17, s58
	s_mul_hi_u32 s12, s19, s57
	s_add_u32 s1, s13, s1
	s_addc_u32 s0, s12, s0
	s_add_u32 s1, s1, s10
	s_addc_u32 s0, s0, s11
	s_add_u32 s1, s1, s8
	s_mul_i32 s15, s2, 0x3d10
	s_addc_u32 s0, s0, s9
	s_mul_hi_u32 s14, s2, 0x3d10
	s_add_u32 s8, s1, s15
	s_addc_u32 s9, s0, s14
	s_mul_i32 s0, s17, s52
	s_mul_hi_u32 s1, s17, s51
	s_and_b32 s30, s8, 0x3ffffff
	s_lshr_b64 s[8:9], s[8:9], 26
	s_lshl_b64 s[10:11], s[2:3], 10
	s_add_i32 s1, s1, s0
	s_mul_i32 s21, s20, s18
	s_mul_i32 s29, s22, s53
	s_mul_hi_u32 s2, s20, s18
	s_mul_hi_u32 s28, s22, s53
	s_add_u32 s21, s29, s21
	s_mul_i32 s33, s24, s54
	s_addc_u32 s2, s28, s2
	s_mul_hi_u32 s31, s24, s54
	s_add_u32 s21, s21, s33
	s_mul_i32 s35, s23, s55
	s_addc_u32 s2, s2, s31
	;; [unrolled: 4-line block ×5, first 2 shown]
	s_mul_hi_u32 s40, s26, s59
	s_add_u32 s21, s21, s41
	s_addc_u32 s2, s2, s40
	s_add_u32 s4, s21, s4
	s_addc_u32 s5, s2, s5
	s_mul_i32 s0, s17, s51
	s_mul_i32 s13, s19, s58
	s_and_b32 s2, s4, 0x3ffffff
	s_lshr_b64 s[4:5], s[4:5], 26
	s_mul_hi_u32 s12, s19, s58
	s_add_u32 s0, s13, s0
	s_mul_i32 s15, s7, s57
	s_addc_u32 s1, s12, s1
	s_mul_hi_u32 s14, s7, s57
	s_add_u32 s0, s0, s15
	s_addc_u32 s1, s1, s14
	s_add_u32 s0, s0, s10
	s_mul_i32 s28, s2, 0x3d10
	s_addc_u32 s1, s1, s11
	s_mul_hi_u32 s21, s2, 0x3d10
	s_add_u32 s0, s0, s28
	s_addc_u32 s1, s1, s21
	s_add_u32 s8, s0, s8
	s_addc_u32 s9, s1, s9
	s_lshl_b64 s[10:11], s[2:3], 10
	s_mul_i32 s2, s19, s52
	s_mul_hi_u32 s12, s19, s51
	s_and_b32 s31, s8, 0x3ffffff
	s_lshr_b64 s[8:9], s[8:9], 26
	s_add_i32 s14, s12, s2
	s_mul_i32 s12, s22, s18
	s_mul_i32 s34, s24, s53
	s_mul_hi_u32 s2, s22, s18
	s_mul_hi_u32 s13, s24, s53
	s_add_u32 s12, s34, s12
	s_mul_i32 s36, s23, s54
	s_addc_u32 s2, s13, s2
	s_mul_hi_u32 s35, s23, s54
	s_add_u32 s12, s12, s36
	s_mul_i32 s38, s25, s55
	s_addc_u32 s2, s2, s35
	;; [unrolled: 4-line block ×4, first 2 shown]
	s_mul_hi_u32 s41, s26, s60
	s_add_u32 s12, s12, s42
	s_addc_u32 s2, s2, s41
	s_add_u32 s4, s12, s4
	s_addc_u32 s5, s2, s5
	s_mul_i32 s1, s17, s59
	s_mul_i32 s33, s20, s57
	s_and_b32 s2, s4, 0x3ffffff
	s_lshr_b64 s[12:13], s[4:5], 26
	s_mul_hi_u32 s0, s17, s59
	s_mul_hi_u32 s29, s20, s57
	s_add_u32 s1, s1, s33
	s_mul_i32 s15, s19, s51
	s_addc_u32 s0, s0, s29
	s_add_u32 s1, s1, s15
	s_mul_i32 s28, s7, s58
	s_addc_u32 s0, s0, s14
	s_mul_hi_u32 s21, s7, s58
	s_add_u32 s1, s1, s28
	s_addc_u32 s0, s0, s21
	s_add_u32 s1, s1, s10
	s_mul_i32 s5, s2, 0x3d10
	s_addc_u32 s0, s0, s11
	s_mul_hi_u32 s4, s2, 0x3d10
	s_add_u32 s1, s1, s5
	s_addc_u32 s0, s0, s4
	s_add_u32 s4, s1, s8
	s_addc_u32 s5, s0, s9
	s_lshl_b64 s[10:11], s[2:3], 10
	s_mul_i32 s2, s7, s52
	s_mul_hi_u32 s21, s7, s51
	s_lshr_b64 s[8:9], s[4:5], 26
	s_add_i32 s21, s21, s2
	s_mul_i32 s36, s24, s18
	s_mul_i32 s38, s23, s53
	s_mul_hi_u32 s2, s24, s18
	s_mul_hi_u32 s37, s23, s53
	s_add_u32 s36, s38, s36
	s_mul_i32 s40, s25, s54
	s_addc_u32 s2, s37, s2
	s_mul_hi_u32 s39, s25, s54
	s_add_u32 s36, s36, s40
	s_mul_i32 s42, s16, s55
	s_addc_u32 s2, s2, s39
	;; [unrolled: 4-line block ×3, first 2 shown]
	s_mul_hi_u32 s43, s26, s56
	s_add_u32 s36, s36, s44
	s_addc_u32 s2, s2, s43
	s_add_u32 s12, s36, s12
	s_addc_u32 s13, s2, s13
	s_mul_i32 s33, s20, s58
	s_mul_i32 s35, s22, s57
	s_and_b32 s2, s12, 0x3ffffff
	s_lshr_b64 s[12:13], s[12:13], 26
	s_mul_hi_u32 s29, s20, s58
	s_mul_hi_u32 s34, s22, s57
	s_add_u32 s33, s35, s33
	s_mul_i32 s1, s17, s60
	s_addc_u32 s29, s34, s29
	s_mul_hi_u32 s0, s17, s60
	s_add_u32 s1, s33, s1
	s_mul_i32 s15, s19, s59
	s_addc_u32 s0, s29, s0
	;; [unrolled: 4-line block ×3, first 2 shown]
	s_add_u32 s1, s1, s28
	s_addc_u32 s0, s0, s21
	s_add_u32 s1, s1, s10
	s_mul_i32 s37, s2, 0x3d10
	s_addc_u32 s0, s0, s11
	s_mul_hi_u32 s36, s2, 0x3d10
	s_add_u32 s1, s1, s37
	s_addc_u32 s0, s0, s36
	s_add_u32 s8, s1, s8
	s_addc_u32 s9, s0, s9
	s_lshl_b64 s[14:15], s[2:3], 10
	s_mul_i32 s2, s20, s52
	s_mul_hi_u32 s34, s20, s51
	s_lshr_b64 s[10:11], s[8:9], 26
	s_add_i32 s34, s34, s2
	s_mul_i32 s40, s23, s18
	s_mul_i32 s42, s25, s53
	s_mul_hi_u32 s2, s23, s18
	s_mul_hi_u32 s41, s25, s53
	s_add_u32 s40, s42, s40
	s_mul_i32 s44, s16, s54
	s_addc_u32 s2, s41, s2
	s_mul_hi_u32 s43, s16, s54
	s_add_u32 s40, s40, s44
	s_mul_i32 s46, s26, s55
	s_addc_u32 s2, s2, s43
	s_mul_hi_u32 s45, s26, s55
	s_add_u32 s40, s40, s46
	s_addc_u32 s2, s2, s45
	s_add_u32 s12, s40, s12
	s_addc_u32 s13, s2, s13
	s_mul_i32 s35, s20, s51
	s_mul_i32 s37, s22, s58
	s_and_b32 s2, s12, 0x3ffffff
	s_lshr_b64 s[12:13], s[12:13], 26
	s_mul_hi_u32 s36, s22, s58
	s_add_u32 s35, s37, s35
	s_mul_i32 s39, s24, s57
	s_addc_u32 s34, s36, s34
	s_mul_hi_u32 s38, s24, s57
	s_add_u32 s35, s35, s39
	s_mul_i32 s1, s17, s56
	s_addc_u32 s34, s34, s38
	;; [unrolled: 4-line block ×4, first 2 shown]
	s_mul_hi_u32 s29, s7, s59
	s_add_u32 s1, s1, s33
	s_addc_u32 s0, s0, s29
	s_add_u32 s1, s1, s14
	s_mul_i32 s41, s2, 0x3d10
	s_addc_u32 s0, s0, s15
	s_mul_hi_u32 s40, s2, 0x3d10
	s_add_u32 s1, s1, s41
	s_addc_u32 s0, s0, s40
	s_add_u32 s10, s1, s10
	s_addc_u32 s11, s0, s11
	s_lshl_b64 s[28:29], s[2:3], 10
	s_mul_i32 s2, s22, s52
	s_mul_hi_u32 s34, s22, s51
	s_lshr_b64 s[14:15], s[10:11], 26
	s_add_i32 s40, s34, s2
	s_mul_i32 s34, s25, s18
	s_mul_i32 s46, s16, s53
	s_mul_hi_u32 s2, s25, s18
	s_mul_hi_u32 s35, s16, s53
	s_add_u32 s34, s46, s34
	s_mul_i32 s48, s26, s54
	s_addc_u32 s2, s35, s2
	s_mul_hi_u32 s47, s26, s54
	s_add_u32 s34, s34, s48
	s_addc_u32 s2, s2, s47
	s_add_u32 s12, s34, s12
	s_addc_u32 s13, s2, s13
	s_mul_i32 s39, s20, s59
	s_mul_i32 s41, s22, s51
	s_and_b32 s2, s12, 0x3ffffff
	s_lshr_b64 s[34:35], s[12:13], 26
	s_mul_hi_u32 s38, s20, s59
	s_add_u32 s39, s41, s39
	s_mul_i32 s43, s24, s58
	s_addc_u32 s38, s40, s38
	s_mul_hi_u32 s42, s24, s58
	s_add_u32 s39, s39, s43
	s_mul_i32 s45, s23, s57
	s_addc_u32 s38, s38, s42
	;; [unrolled: 4-line block ×5, first 2 shown]
	s_mul_hi_u32 s36, s7, s60
	s_add_u32 s1, s1, s37
	s_addc_u32 s0, s0, s36
	s_add_u32 s1, s1, s28
	s_mul_i32 s13, s2, 0x3d10
	s_addc_u32 s0, s0, s29
	s_mul_hi_u32 s12, s2, 0x3d10
	s_add_u32 s1, s1, s13
	s_addc_u32 s0, s0, s12
	s_add_u32 s12, s1, s14
	s_addc_u32 s13, s0, s15
	s_lshl_b64 s[28:29], s[2:3], 10
	s_mul_i32 s2, s24, s52
	s_mul_hi_u32 s42, s24, s51
	s_lshr_b64 s[14:15], s[12:13], 26
	s_add_i32 s42, s42, s2
	s_mul_i32 s48, s16, s18
	s_mul_i32 s50, s26, s53
	s_mul_hi_u32 s2, s16, s18
	s_mul_hi_u32 s49, s26, s53
	s_add_u32 s48, s50, s48
	s_addc_u32 s2, s49, s2
	s_add_u32 s34, s48, s34
	s_addc_u32 s35, s2, s35
	s_mul_i32 s39, s20, s60
	s_mul_i32 s41, s22, s59
	s_and_b32 s2, s34, 0x3ffffff
	s_lshr_b64 s[34:35], s[34:35], 26
	s_mul_hi_u32 s38, s20, s60
	s_mul_hi_u32 s40, s22, s59
	s_add_u32 s39, s41, s39
	s_mul_i32 s43, s24, s51
	s_addc_u32 s38, s40, s38
	s_add_u32 s39, s39, s43
	s_mul_i32 s45, s23, s58
	s_addc_u32 s38, s38, s42
	s_mul_hi_u32 s44, s23, s58
	s_add_u32 s39, s39, s45
	s_mul_i32 s47, s25, s57
	s_addc_u32 s38, s38, s44
	s_mul_hi_u32 s46, s25, s57
	;; [unrolled: 4-line block ×5, first 2 shown]
	s_add_u32 s1, s1, s37
	s_addc_u32 s0, s0, s36
	s_add_u32 s1, s1, s28
	s_mul_i32 s49, s2, 0x3d10
	s_addc_u32 s0, s0, s29
	s_mul_hi_u32 s48, s2, 0x3d10
	s_add_u32 s1, s1, s49
	s_addc_u32 s0, s0, s48
	s_add_u32 s14, s1, s14
	s_addc_u32 s15, s0, s15
	s_lshl_b64 s[36:37], s[2:3], 10
	s_mul_hi_u32 s0, s17, s53
	s_mul_i32 s1, s17, s53
	s_mul_i32 s2, s23, s52
	s_mul_hi_u32 s17, s23, s51
	s_lshr_b64 s[28:29], s[14:15], 26
	s_add_i32 s43, s17, s2
	s_mul_hi_u32 s2, s26, s18
	s_mul_i32 s26, s26, s18
	s_mul_hi_u32 s45, s16, s57
	s_mul_i32 s46, s16, s57
	s_add_u32 s16, s34, s26
	s_addc_u32 s17, s35, s2
	s_mul_hi_u32 s39, s20, s56
	s_mul_i32 s40, s20, s56
	s_mul_hi_u32 s41, s22, s60
	s_mul_i32 s22, s22, s60
	s_and_b32 s2, s16, 0x3ffffff
	s_lshr_b64 s[20:21], s[16:17], 26
	s_add_u32 s22, s22, s40
	s_mul_hi_u32 s42, s24, s59
	s_mul_i32 s24, s24, s59
	s_addc_u32 s35, s41, s39
	s_add_u32 s22, s22, s24
	s_mul_i32 s23, s23, s51
	s_addc_u32 s24, s35, s42
	s_add_u32 s22, s22, s23
	s_mul_hi_u32 s44, s25, s58
	s_mul_i32 s25, s25, s58
	s_addc_u32 s23, s24, s43
	s_add_u32 s22, s22, s25
	s_addc_u32 s23, s23, s44
	s_add_u32 s22, s22, s46
	;; [unrolled: 2-line block ×3, first 2 shown]
	s_mul_hi_u32 s33, s19, s54
	s_mul_i32 s19, s19, s54
	s_addc_u32 s0, s23, s0
	s_add_u32 s1, s1, s19
	s_mul_hi_u32 s38, s7, s55
	s_mul_i32 s7, s7, s55
	s_addc_u32 s0, s0, s33
	s_add_u32 s1, s1, s7
	s_addc_u32 s0, s0, s38
	s_add_u32 s1, s1, s36
	s_mul_i32 s34, s2, 0x3d10
	s_addc_u32 s0, s0, s37
	s_mul_hi_u32 s26, s2, 0x3d10
	s_add_u32 s1, s1, s34
	s_addc_u32 s0, s0, s26
	v_mov_b32_e32 v0, s16
	s_add_u32 s24, s1, s28
	v_alignbit_b32 v0, s17, v0, 26
	s_addc_u32 s25, s0, s29
	v_readfirstlane_b32 s0, v0
	s_lshr_b64 s[22:23], s[24:25], 26
	s_lshl_b64 s[28:29], s[2:3], 10
	s_mul_hi_u32 s1, s0, 0x3d10
	s_mulk_i32 s0, 0x3d10
	s_add_u32 s0, s0, s6
	s_addc_u32 s1, s1, 0
	s_add_u32 s0, s0, s28
	s_addc_u32 s1, s1, s29
	s_add_u32 s28, s0, s22
	s_addc_u32 s29, s1, s23
	s_lshr_b64 s[6:7], s[28:29], 22
	s_lshl_b64 s[16:17], s[20:21], 14
	s_add_u32 s6, s6, s16
	s_addc_u32 s7, s7, s17
	s_mul_i32 s0, s7, 0x3d1
	s_mul_hi_u32 s1, s6, 0x3d1
	s_add_i32 s1, s1, s0
	s_mul_i32 s0, s6, 0x3d1
	s_add_u32 s16, s0, s27
	s_addc_u32 s17, s1, 0
	s_lshr_b64 s[20:21], s[16:17], 26
	s_lshl_b64 s[6:7], s[6:7], 6
	s_add_u32 s0, s6, s30
	s_addc_u32 s1, s7, 0
	s_add_u32 s26, s0, s20
	s_addc_u32 s27, s1, s21
	s_lshr_b64 s[6:7], s[26:27], 26
	s_add_u32 s6, s6, s31
	s_mov_b32 s7, 11
	s_mov_b64 s[48:49], s[16:17]
	s_mov_b64 s[46:47], s[26:27]
	;; [unrolled: 1-line block ×10, first 2 shown]
.LBB0_9:                                ; =>This Inner Loop Header: Depth=1
	s_lshl_b32 s20, s34, 1
	s_lshl_b32 s23, s30, 1
	s_lshl_b32 s17, s48, 1
	s_lshl_b32 s19, s46, 1
	s_and_b32 s15, s38, 0x3ffffff
	s_and_b32 s2, s40, 0x3ffffff
	;; [unrolled: 1-line block ×6, first 2 shown]
	s_lshl_b32 s11, s42, 1
	s_and_b32 s13, s36, 0x3ffffff
	s_and_b32 s43, s17, 0x7fffffe
	;; [unrolled: 1-line block ×3, first 2 shown]
	s_mul_i32 s33, s15, s39
	s_mul_i32 s70, s25, s2
	s_mul_hi_u32 s49, s15, s39
	s_mul_hi_u32 s50, s25, s2
	s_add_u32 s70, s33, s70
	s_mul_i32 s58, s13, s11
	s_addc_u32 vcc_hi, s49, s50
	s_mul_hi_u32 s22, s13, s11
	s_mul_hi_u32 s56, s2, s2
	s_mul_i32 s57, s2, s2
	s_mul_hi_u32 s61, s2, s11
	s_mul_i32 s79, s2, s11
	s_mul_hi_u32 s95, s2, s43
	s_mul_i32 vcc_lo, s2, s43
	s_mul_hi_u32 s66, s2, s41
	s_mul_i32 s67, s2, s41
	s_mul_hi_u32 s49, s2, s39
	s_mul_i32 s50, s2, s39
	s_add_u32 s2, s70, s58
	s_mul_i32 s69, s9, s41
	s_addc_u32 s22, vcc_hi, s22
	s_mul_hi_u32 s68, s9, s41
	s_add_u32 s2, s2, s69
	s_mul_i32 s1, s5, s43
	s_addc_u32 s22, s22, s68
	s_mul_hi_u32 s0, s5, s43
	s_add_u32 s68, s2, s1
	s_addc_u32 s69, s22, s0
	s_mul_i32 s80, s15, s25
	s_and_b32 s22, s68, 0x3fffffe
	s_and_b32 s0, s48, 0x3ffffff
	s_lshr_b64 s[68:69], s[68:69], 26
	s_mul_hi_u32 s75, s15, s25
	s_add_u32 s2, s80, s57
	s_mul_i32 s74, s13, s39
	s_addc_u32 s48, s75, s56
	s_mul_hi_u32 s73, s13, s39
	s_add_u32 s2, s2, s74
	s_mul_i32 s55, s9, s11
	s_addc_u32 s48, s48, s73
	;; [unrolled: 4-line block ×3, first 2 shown]
	s_mul_hi_u32 s71, s5, s41
	s_add_u32 s2, s2, s72
	s_addc_u32 s20, s20, s71
	s_add_u32 s56, s2, s68
	s_addc_u32 s57, s20, s69
	s_and_b32 s2, s56, 0x3ffffff
	s_mul_hi_u32 s1, s0, s0
	s_mul_i32 s0, s0, s0
	s_lshr_b64 s[56:57], s[56:57], 26
	s_mul_i32 s48, s2, 0x3d10
	s_mul_hi_u32 s20, s2, 0x3d10
	s_add_u32 s68, s48, s0
	s_addc_u32 s69, s20, s1
	s_lshl_b32 s1, s40, 1
	s_and_b32 s1, s1, 0x7fffffe
	s_mul_hi_u32 s23, s15, s15
	s_mul_i32 s35, s15, s15
	s_mul_hi_u32 s17, s15, s11
	s_mul_i32 s19, s15, s11
	s_mul_i32 s84, s13, s25
	s_mul_hi_u32 s21, s15, s43
	s_mul_i32 s64, s15, s43
	s_mul_hi_u32 s63, s15, s41
	s_mul_i32 s65, s15, s41
	s_and_b32 s20, s68, 0x3fffffd
	s_lshl_b64 s[70:71], s[2:3], 10
	s_and_b32 s0, s46, 0x3ffffff
	s_lshr_b64 s[68:69], s[68:69], 26
	s_mul_hi_u32 s2, s1, s15
	s_mul_i32 s15, s1, s15
	s_mul_hi_u32 s83, s13, s25
	s_add_u32 s15, s84, s15
	s_mul_i32 s82, s9, s39
	s_addc_u32 s2, s83, s2
	s_mul_hi_u32 s81, s9, s39
	s_add_u32 s15, s15, s82
	s_mul_i32 s54, s5, s11
	s_addc_u32 s2, s2, s81
	s_mul_hi_u32 s53, s5, s11
	s_add_u32 s15, s15, s54
	s_addc_u32 s2, s2, s53
	s_add_u32 s54, s15, s56
	s_addc_u32 s55, s2, s57
	s_mul_i32 s46, s43, s0
	s_and_b32 s2, s54, 0x3ffffff
	s_lshr_b64 s[54:55], s[54:55], 26
	s_mul_hi_u32 s40, s43, s0
	s_add_u32 s46, s70, s46
	s_addc_u32 s40, s71, s40
	s_add_u32 s46, s46, s68
	s_mul_i32 s53, s2, 0x3d10
	s_addc_u32 s40, s40, s69
	s_mul_hi_u32 s15, s2, 0x3d10
	s_add_u32 s56, s46, s53
	s_addc_u32 s57, s40, s15
	s_mul_i32 s72, s13, s1
	s_and_b32 s15, s56, 0x3ffffff
	s_lshl_b64 s[68:69], s[2:3], 10
	s_lshr_b64 s[56:57], s[56:57], 26
	s_mul_hi_u32 s58, s13, s1
	s_add_u32 s2, s72, s35
	s_mul_i32 s90, s9, s25
	s_addc_u32 s23, s58, s23
	s_mul_hi_u32 s89, s9, s25
	s_add_u32 s2, s2, s90
	s_mul_i32 s88, s5, s39
	s_addc_u32 s23, s23, s89
	s_mul_hi_u32 s87, s5, s39
	s_add_u32 s2, s2, s88
	s_addc_u32 s23, s23, s87
	s_add_u32 s54, s2, s54
	s_addc_u32 s55, s23, s55
	s_mul_i32 s86, s42, s43
	s_mul_hi_u32 s48, s0, s0
	s_mul_i32 s0, s0, s0
	s_and_b32 s2, s54, 0x3ffffff
	s_lshr_b64 s[54:55], s[54:55], 26
	s_mul_hi_u32 s85, s42, s43
	s_add_u32 s0, s86, s0
	s_addc_u32 s40, s85, s48
	s_add_u32 s0, s0, s68
	s_mul_i32 s35, s2, 0x3d10
	s_addc_u32 s40, s40, s69
	s_mul_hi_u32 s23, s2, 0x3d10
	s_add_u32 s0, s0, s35
	s_addc_u32 s23, s40, s23
	s_add_u32 s56, s0, s56
	s_addc_u32 s57, s23, s57
	s_lshl_b64 s[68:69], s[2:3], 10
	s_lshl_b32 s2, s38, 1
	s_and_b32 s2, s2, 0x7fffffe
	s_mul_hi_u32 s31, s42, s42
	s_mul_i32 s37, s42, s42
	s_mul_hi_u32 s45, s13, s13
	s_mul_i32 s47, s13, s13
	s_mul_hi_u32 s91, s41, s42
	s_mul_i32 s92, s41, s42
	s_mul_hi_u32 s42, s13, s43
	s_mul_i32 s62, s13, s43
	s_mul_hi_u32 s29, s13, s41
	s_mul_i32 s33, s13, s41
	s_mul_i32 s74, s9, s1
	s_and_b32 s23, s56, 0x3ffffff
	s_and_b32 s0, s34, 0x3ffffff
	s_lshr_b64 s[34:35], s[56:57], 26
	s_mul_hi_u32 s56, s2, s13
	s_mul_i32 s13, s2, s13
	s_mul_hi_u32 s73, s9, s1
	s_mul_hi_u32 s71, s9, s2
	s_mul_i32 s72, s9, s2
	s_mul_hi_u32 s80, s5, s2
	s_mul_i32 s81, s5, s2
	s_add_u32 s2, s74, s13
	s_mul_i32 s94, s5, s25
	s_addc_u32 s13, s73, s56
	s_mul_hi_u32 s93, s5, s25
	s_add_u32 s2, s2, s94
	s_addc_u32 s13, s13, s93
	s_add_u32 s54, s2, s54
	s_addc_u32 s55, s13, s55
	s_mul_i32 s40, s0, s43
	s_and_b32 s2, s54, 0x3ffffff
	s_lshr_b64 s[54:55], s[54:55], 26
	s_mul_hi_u32 s38, s0, s43
	s_add_u32 s40, s40, s92
	s_addc_u32 s38, s38, s91
	s_add_u32 s40, s40, s68
	s_mul_i32 s56, s2, 0x3d10
	s_addc_u32 s38, s38, s69
	s_mul_hi_u32 s13, s2, 0x3d10
	s_add_u32 s40, s40, s56
	s_addc_u32 s13, s38, s13
	s_add_u32 s34, s40, s34
	s_addc_u32 s35, s13, s35
	s_lshl_b64 s[56:57], s[2:3], 10
	s_and_b32 s13, s30, 0x3ffffff
	s_lshr_b64 s[68:69], s[34:35], 26
	s_add_u32 s2, s72, s47
	s_mul_hi_u32 s75, s5, s1
	s_mul_i32 s1, s5, s1
	s_addc_u32 s38, s71, s45
	s_add_u32 s1, s2, s1
	s_addc_u32 s2, s38, s75
	s_add_u32 s38, s1, s54
	s_mul_hi_u32 s83, s39, s13
	s_mul_i32 s84, s39, s13
	s_addc_u32 s39, s2, s55
	s_mul_i32 s48, s0, s41
	s_and_b32 s2, s38, 0x3ffffff
	s_lshr_b64 s[38:39], s[38:39], 26
	s_mul_hi_u32 s46, s0, s41
	s_add_u32 s37, s48, s37
	s_mul_i32 s35, s13, s43
	s_addc_u32 s31, s46, s31
	s_mul_hi_u32 s30, s13, s43
	s_add_u32 s35, s37, s35
	s_addc_u32 s30, s31, s30
	s_add_u32 s31, s35, s56
	s_mul_i32 s40, s2, 0x3d10
	s_addc_u32 s30, s30, s57
	s_mul_hi_u32 s1, s2, 0x3d10
	s_add_u32 s31, s31, s40
	s_addc_u32 s1, s30, s1
	s_add_u32 s30, s31, s68
	s_addc_u32 s31, s1, s69
	s_lshl_b32 s1, s36, 1
	s_and_b32 s1, s1, 0x7fffffe
	s_mul_hi_u32 s59, s9, s9
	s_mul_i32 s60, s9, s9
	s_mul_hi_u32 s25, s9, s43
	s_mul_i32 s27, s9, s43
	;; [unrolled: 2-line block ×3, first 2 shown]
	s_lshl_b64 s[40:41], s[2:3], 10
	s_lshr_b64 s[36:37], s[30:31], 26
	s_mul_hi_u32 s2, s1, s9
	s_mul_i32 s9, s1, s9
	s_add_u32 s9, s81, s9
	s_addc_u32 s2, s80, s2
	s_add_u32 s38, s9, s38
	s_addc_u32 s39, s2, s39
	s_mul_i32 s58, s11, s0
	s_and_b32 s2, s38, 0x3ffffff
	s_lshr_b64 s[38:39], s[38:39], 26
	s_mul_hi_u32 s53, s11, s0
	s_add_u32 s45, s73, s58
	s_addc_u32 s43, s43, s53
	s_add_u32 s45, s45, vcc_lo
	s_addc_u32 s43, s43, s95
	s_add_u32 s40, s45, s40
	s_mul_i32 s35, s2, 0x3d10
	s_addc_u32 s41, s43, s41
	s_mul_hi_u32 s9, s2, 0x3d10
	s_add_u32 s35, s40, s35
	s_addc_u32 s9, s41, s9
	s_add_u32 s40, s35, s36
	s_addc_u32 s41, s9, s37
	s_mul_hi_u32 s31, s5, s1
	s_mul_i32 s1, s5, s1
	s_lshl_b64 s[36:37], s[2:3], 10
	s_lshr_b64 s[46:47], s[40:41], 26
	s_add_u32 s1, s1, s60
	s_addc_u32 s2, s31, s59
	s_add_u32 s38, s1, s38
	s_addc_u32 s39, s2, s39
	s_mul_hi_u32 s70, s0, s0
	s_mul_i32 s0, s0, s0
	s_mul_i32 s82, s13, s11
	s_and_b32 s2, s38, 0x3ffffff
	s_lshr_b64 s[54:55], s[38:39], 26
	s_mul_hi_u32 s74, s13, s11
	s_add_u32 s0, s82, s0
	s_addc_u32 s31, s74, s70
	s_add_u32 s0, s0, s67
	s_addc_u32 s31, s31, s66
	;; [unrolled: 2-line block ×3, first 2 shown]
	s_add_u32 s0, s0, s36
	s_mul_i32 s9, s2, 0x3d10
	s_addc_u32 s21, s21, s37
	s_mul_hi_u32 s1, s2, 0x3d10
	s_add_u32 s0, s0, s9
	s_addc_u32 s1, s21, s1
	s_add_u32 s38, s0, s46
	s_addc_u32 s39, s1, s47
	s_lshl_b32 s0, s44, 1
	s_and_b32 s0, s0, 0x7fffffe
	s_lshl_b64 s[36:37], s[2:3], 10
	s_lshr_b64 s[44:45], s[38:39], 26
	s_mul_hi_u32 s1, s0, s5
	s_mul_i32 s0, s0, s5
	s_add_u32 s46, s54, s0
	s_addc_u32 s47, s55, s1
	s_and_b32 s2, s46, 0x3ffffff
	s_lshr_b64 s[46:47], s[46:47], 26
	s_mul_hi_u32 s51, s5, s5
	s_mul_i32 s52, s5, s5
	s_add_u32 s5, s79, s84
	s_addc_u32 s9, s61, s83
	s_add_u32 s5, s5, s65
	s_addc_u32 s9, s9, s63
	;; [unrolled: 2-line block ×3, first 2 shown]
	s_add_u32 s5, s5, s36
	s_mul_i32 s1, s2, 0x3d10
	s_addc_u32 s9, s9, s37
	s_mul_hi_u32 s0, s2, 0x3d10
	s_add_u32 s1, s5, s1
	s_addc_u32 s0, s9, s0
	s_add_u32 s36, s1, s44
	s_addc_u32 s37, s0, s45
	s_lshl_b64 s[44:45], s[2:3], 10
	s_lshr_b64 s[42:43], s[36:37], 26
	s_add_u32 s46, s46, s52
	s_addc_u32 s47, s47, s51
	s_mul_hi_u32 s11, s13, s13
	s_mul_i32 s13, s13, s13
	s_and_b32 s2, s46, 0x3ffffff
	s_lshr_b64 s[52:53], s[46:47], 26
	s_add_u32 s5, s50, s13
	s_addc_u32 s11, s49, s11
	s_add_u32 s5, s5, s19
	s_addc_u32 s11, s11, s17
	;; [unrolled: 2-line block ×4, first 2 shown]
	s_add_u32 s5, s5, s44
	s_mul_i32 s1, s2, 0x3d10
	s_addc_u32 s11, s11, s45
	s_mul_hi_u32 s0, s2, 0x3d10
	s_add_u32 s1, s5, s1
	v_mov_b32_e32 v0, s46
	s_addc_u32 s0, s11, s0
	v_alignbit_b32 v0, s47, v0, 26
	s_add_u32 s44, s1, s42
	v_readfirstlane_b32 s9, v0
	s_addc_u32 s45, s0, s43
	s_mul_hi_u32 s13, s9, 0x3d10
	s_mulk_i32 s9, 0x3d10
	s_lshl_b64 s[42:43], s[2:3], 10
	s_lshr_b64 s[46:47], s[44:45], 26
	s_add_u32 s0, s9, s22
	s_addc_u32 s1, s13, 0
	s_add_u32 s0, s0, s42
	s_addc_u32 s1, s1, s43
	;; [unrolled: 2-line block ×3, first 2 shown]
	s_lshl_b64 s[42:43], s[52:53], 14
	s_lshr_b64 s[46:47], s[50:51], 22
	s_add_u32 s42, s46, s42
	s_addc_u32 s43, s47, s43
	s_mul_hi_u32 s0, s42, 0x3d1
	s_mul_i32 s2, s43, 0x3d1
	s_mul_i32 s1, s42, 0x3d1
	s_add_i32 s0, s0, s2
	s_add_u32 s48, s1, s20
	s_addc_u32 s49, s0, 0
	s_lshl_b64 s[20:21], s[42:43], 6
	s_lshr_b64 s[42:43], s[48:49], 26
	s_add_u32 s0, s20, s15
	s_addc_u32 s1, s21, 0
	s_add_u32 s46, s0, s42
	s_addc_u32 s47, s1, s43
	s_lshr_b64 s[20:21], s[46:47], 26
	s_add_i32 s7, s7, -1
	s_add_u32 s42, s20, s23
	s_cmp_lg_u32 s7, 0
	s_cbranch_scc1 .LBB0_9
; %bb.10:
	s_and_b32 s2, s28, 0x3fffff
	s_and_b32 s20, s24, 0x3ffffff
	;; [unrolled: 1-line block ×9, first 2 shown]
	s_mul_i32 s13, s22, s25
	s_mul_i32 s14, s24, s28
	s_and_b32 s27, s40, 0x3ffffff
	s_and_b32 s30, s8, 0x3ffffff
	;; [unrolled: 1-line block ×9, first 2 shown]
	s_mul_hi_u32 s12, s22, s25
	s_mul_hi_u32 s10, s24, s28
	s_add_u32 s13, s14, s13
	s_mul_i32 s15, s27, s30
	s_addc_u32 s10, s10, s12
	s_mul_hi_u32 s8, s27, s30
	s_add_u32 s12, s13, s15
	s_mul_i32 s17, s29, s33
	s_addc_u32 s8, s10, s8
	;; [unrolled: 4-line block ×8, first 2 shown]
	s_mul_hi_u32 s9, s42, s23
	s_add_u32 s8, s1, s11
	s_addc_u32 s9, s0, s9
	s_and_b32 s3, s8, 0x3ffffff
	s_lshr_b64 s[8:9], s[8:9], 26
	s_mul_i32 s14, s22, s23
	s_mul_i32 s16, s24, s25
	s_mul_hi_u32 s13, s22, s23
	s_mul_hi_u32 s15, s24, s25
	s_add_u32 s14, s16, s14
	s_mul_i32 s21, s27, s28
	s_addc_u32 s13, s15, s13
	s_mul_hi_u32 s17, s27, s28
	s_add_u32 s14, s14, s21
	s_mul_i32 s38, s29, s30
	s_addc_u32 s13, s13, s17
	;; [unrolled: 4-line block ×7, first 2 shown]
	s_mul_hi_u32 s11, s42, s20
	s_add_u32 s10, s10, s12
	s_addc_u32 s4, s4, s11
	s_add_u32 s8, s10, s8
	s_addc_u32 s9, s4, s9
	s_and_b32 s4, s8, 0x3ffffff
	s_mul_i32 s1, s7, s36
	s_lshr_b64 s[8:9], s[8:9], 26
	s_mul_i32 s10, s4, 0x3d10
	s_mul_hi_u32 s0, s7, s36
	s_mul_hi_u32 s11, s4, 0x3d10
	s_add_u32 s10, s10, s1
	s_mov_b32 s5, 0
	s_addc_u32 s11, s11, s0
	s_and_b32 s37, s10, 0x3ffffff
	s_lshr_b64 s[10:11], s[10:11], 26
	s_lshl_b64 s[12:13], s[4:5], 10
	s_mul_i32 s21, s22, s20
	s_mul_i32 s39, s24, s23
	s_mul_hi_u32 s17, s22, s20
	s_mul_hi_u32 s38, s24, s23
	s_add_u32 s21, s39, s21
	s_mul_i32 s41, s27, s25
	s_addc_u32 s17, s38, s17
	s_mul_hi_u32 s40, s27, s25
	s_add_u32 s21, s21, s41
	s_mul_i32 s44, s29, s28
	s_addc_u32 s17, s17, s40
	;; [unrolled: 4-line block ×6, first 2 shown]
	s_mul_hi_u32 s4, s42, s2
	s_add_u32 s16, s21, s16
	s_addc_u32 s4, s17, s4
	s_add_u32 s8, s16, s8
	s_addc_u32 s9, s4, s9
	s_mul_i32 s1, s7, s35
	s_mul_i32 s15, s19, s36
	s_and_b32 s4, s8, 0x3ffffff
	s_lshr_b64 s[8:9], s[8:9], 26
	s_mul_hi_u32 s0, s7, s35
	s_mul_hi_u32 s14, s19, s36
	s_add_u32 s1, s15, s1
	s_addc_u32 s0, s14, s0
	s_add_u32 s1, s1, s12
	s_addc_u32 s0, s0, s13
	s_add_u32 s1, s1, s10
	s_mul_i32 s17, s4, 0x3d10
	s_addc_u32 s0, s0, s11
	s_mul_hi_u32 s16, s4, 0x3d10
	s_add_u32 s10, s1, s17
	s_addc_u32 s11, s0, s16
	s_and_b32 s38, s10, 0x3ffffff
	s_lshr_b64 s[10:11], s[10:11], 26
	s_lshl_b64 s[12:13], s[4:5], 10
	s_mul_i32 s21, s22, s2
	s_mul_i32 s40, s24, s20
	s_mul_hi_u32 s4, s22, s2
	s_mul_hi_u32 s39, s24, s20
	s_add_u32 s21, s40, s21
	s_mul_i32 s43, s27, s23
	s_addc_u32 s4, s39, s4
	s_mul_hi_u32 s41, s27, s23
	s_add_u32 s21, s21, s43
	s_mul_i32 s45, s29, s25
	s_addc_u32 s4, s4, s41
	;; [unrolled: 4-line block ×5, first 2 shown]
	s_mul_hi_u32 s50, s26, s33
	s_add_u32 s21, s21, s51
	s_addc_u32 s4, s4, s50
	s_add_u32 s8, s21, s8
	s_addc_u32 s9, s4, s9
	s_mul_i32 s1, s7, s6
	s_mul_i32 s15, s19, s35
	s_and_b32 s4, s8, 0x3ffffff
	s_lshr_b64 s[8:9], s[8:9], 26
	s_mul_hi_u32 s0, s7, s6
	s_mul_hi_u32 s14, s19, s35
	s_add_u32 s1, s15, s1
	s_mul_i32 s17, s42, s36
	s_addc_u32 s0, s14, s0
	s_mul_hi_u32 s16, s42, s36
	s_add_u32 s1, s1, s17
	s_addc_u32 s0, s0, s16
	s_add_u32 s1, s1, s12
	s_mul_i32 s39, s4, 0x3d10
	s_addc_u32 s0, s0, s13
	s_mul_hi_u32 s21, s4, 0x3d10
	s_add_u32 s1, s1, s39
	s_addc_u32 s0, s0, s21
	s_add_u32 s10, s1, s10
	s_addc_u32 s11, s0, s11
	s_and_b32 s39, s10, 0x3ffffff
	s_lshr_b64 s[10:11], s[10:11], 26
	s_lshl_b64 s[12:13], s[4:5], 10
	s_mul_i32 s14, s24, s2
	s_mul_i32 s44, s27, s20
	s_mul_hi_u32 s4, s24, s2
	s_mul_hi_u32 s15, s27, s20
	s_add_u32 s14, s44, s14
	s_mul_i32 s46, s29, s23
	s_addc_u32 s4, s15, s4
	s_mul_hi_u32 s45, s29, s23
	s_add_u32 s14, s14, s46
	s_mul_i32 s48, s31, s25
	s_addc_u32 s4, s4, s45
	;; [unrolled: 4-line block ×4, first 2 shown]
	s_mul_hi_u32 s51, s26, s30
	s_add_u32 s14, s14, s52
	s_addc_u32 s4, s4, s51
	s_add_u32 s8, s14, s8
	s_addc_u32 s9, s4, s9
	s_mul_i32 s1, s7, s33
	s_mul_i32 s43, s22, s36
	s_and_b32 s4, s8, 0x3ffffff
	s_lshr_b64 s[14:15], s[8:9], 26
	s_mul_hi_u32 s0, s7, s33
	s_mul_hi_u32 s41, s22, s36
	s_add_u32 s1, s1, s43
	s_mul_i32 s17, s19, s6
	s_addc_u32 s0, s0, s41
	s_mul_hi_u32 s16, s19, s6
	s_add_u32 s1, s1, s17
	s_mul_i32 s40, s42, s35
	s_addc_u32 s0, s0, s16
	s_mul_hi_u32 s21, s42, s35
	s_add_u32 s1, s1, s40
	s_addc_u32 s0, s0, s21
	s_add_u32 s1, s1, s12
	s_mul_i32 s9, s4, 0x3d10
	s_addc_u32 s0, s0, s13
	s_mul_hi_u32 s8, s4, 0x3d10
	s_add_u32 s1, s1, s9
	s_addc_u32 s0, s0, s8
	s_add_u32 s8, s1, s10
	s_addc_u32 s9, s0, s11
	s_lshr_b64 s[10:11], s[8:9], 26
	s_lshl_b64 s[12:13], s[4:5], 10
	s_mul_i32 s46, s27, s2
	s_mul_i32 s48, s29, s20
	s_mul_hi_u32 s4, s27, s2
	s_mul_hi_u32 s47, s29, s20
	s_add_u32 s46, s48, s46
	s_mul_i32 s50, s31, s23
	s_addc_u32 s4, s47, s4
	s_mul_hi_u32 s49, s31, s23
	s_add_u32 s46, s46, s50
	s_mul_i32 s52, s34, s25
	s_addc_u32 s4, s4, s49
	;; [unrolled: 4-line block ×3, first 2 shown]
	s_mul_hi_u32 s53, s26, s28
	s_add_u32 s46, s46, s54
	s_addc_u32 s4, s4, s53
	s_add_u32 s14, s46, s14
	s_addc_u32 s15, s4, s15
	s_mul_i32 s43, s22, s35
	s_mul_i32 s45, s24, s36
	s_and_b32 s4, s14, 0x3ffffff
	s_lshr_b64 s[14:15], s[14:15], 26
	s_mul_hi_u32 s41, s22, s35
	s_mul_hi_u32 s44, s24, s36
	s_add_u32 s43, s45, s43
	s_mul_i32 s1, s7, s30
	s_addc_u32 s41, s44, s41
	s_mul_hi_u32 s0, s7, s30
	s_add_u32 s1, s43, s1
	s_mul_i32 s17, s19, s33
	s_addc_u32 s0, s41, s0
	;; [unrolled: 4-line block ×3, first 2 shown]
	s_mul_hi_u32 s21, s42, s6
	s_add_u32 s1, s1, s40
	s_addc_u32 s0, s0, s21
	s_add_u32 s1, s1, s12
	s_mul_i32 s47, s4, 0x3d10
	s_addc_u32 s0, s0, s13
	s_mul_hi_u32 s46, s4, 0x3d10
	s_add_u32 s1, s1, s47
	s_addc_u32 s0, s0, s46
	s_add_u32 s10, s1, s10
	s_addc_u32 s11, s0, s11
	s_lshr_b64 s[12:13], s[10:11], 26
	s_lshl_b64 s[16:17], s[4:5], 10
	s_mul_i32 s50, s29, s2
	s_mul_i32 s52, s31, s20
	s_mul_hi_u32 s4, s29, s2
	s_mul_hi_u32 s51, s31, s20
	s_add_u32 s50, s52, s50
	s_mul_i32 s54, s34, s23
	s_addc_u32 s4, s51, s4
	s_mul_hi_u32 s53, s34, s23
	s_add_u32 s50, s50, s54
	s_mul_i32 s56, s26, s25
	s_addc_u32 s4, s4, s53
	s_mul_hi_u32 s55, s26, s25
	s_add_u32 s50, s50, s56
	s_addc_u32 s4, s4, s55
	s_add_u32 s14, s50, s14
	s_addc_u32 s15, s4, s15
	s_mul_i32 s45, s22, s6
	s_mul_i32 s47, s24, s35
	s_and_b32 s4, s14, 0x3ffffff
	s_lshr_b64 s[14:15], s[14:15], 26
	s_mul_hi_u32 s44, s22, s6
	s_mul_hi_u32 s46, s24, s35
	s_add_u32 s45, s47, s45
	s_mul_i32 s49, s27, s36
	s_addc_u32 s44, s46, s44
	s_mul_hi_u32 s48, s27, s36
	s_add_u32 s45, s45, s49
	s_mul_i32 s1, s7, s28
	s_addc_u32 s44, s44, s48
	;; [unrolled: 4-line block ×4, first 2 shown]
	s_mul_hi_u32 s41, s42, s33
	s_add_u32 s1, s1, s43
	s_addc_u32 s0, s0, s41
	s_add_u32 s1, s1, s16
	s_mul_i32 s51, s4, 0x3d10
	s_addc_u32 s0, s0, s17
	s_mul_hi_u32 s50, s4, 0x3d10
	s_add_u32 s1, s1, s51
	s_addc_u32 s0, s0, s50
	s_add_u32 s12, s1, s12
	s_addc_u32 s13, s0, s13
	s_lshr_b64 s[16:17], s[12:13], 26
	s_lshl_b64 s[40:41], s[4:5], 10
	s_mul_i32 s44, s31, s2
	s_mul_i32 s56, s34, s20
	s_mul_hi_u32 s4, s31, s2
	s_mul_hi_u32 s45, s34, s20
	s_add_u32 s44, s56, s44
	s_mul_i32 s58, s26, s23
	s_addc_u32 s4, s45, s4
	s_mul_hi_u32 s57, s26, s23
	s_add_u32 s44, s44, s58
	s_addc_u32 s4, s4, s57
	s_add_u32 s14, s44, s14
	s_addc_u32 s15, s4, s15
	s_mul_i32 s49, s22, s33
	s_mul_i32 s51, s24, s6
	s_and_b32 s4, s14, 0x3ffffff
	s_lshr_b64 s[44:45], s[14:15], 26
	s_mul_hi_u32 s48, s22, s33
	s_mul_hi_u32 s50, s24, s6
	s_add_u32 s49, s51, s49
	s_mul_i32 s53, s27, s35
	s_addc_u32 s48, s50, s48
	s_mul_hi_u32 s52, s27, s35
	s_add_u32 s49, s49, s53
	s_mul_i32 s55, s29, s36
	s_addc_u32 s48, s48, s52
	;; [unrolled: 4-line block ×5, first 2 shown]
	s_mul_hi_u32 s46, s42, s30
	s_add_u32 s1, s1, s47
	s_addc_u32 s0, s0, s46
	s_add_u32 s1, s1, s40
	s_mul_i32 s15, s4, 0x3d10
	s_addc_u32 s0, s0, s41
	s_mul_hi_u32 s14, s4, 0x3d10
	s_add_u32 s1, s1, s15
	s_addc_u32 s0, s0, s14
	s_add_u32 s14, s1, s16
	s_addc_u32 s15, s0, s17
	s_lshr_b64 s[16:17], s[14:15], 26
	s_lshl_b64 s[40:41], s[4:5], 10
	s_mul_i32 s58, s34, s2
	s_mul_i32 s60, s26, s20
	s_mul_hi_u32 s4, s34, s2
	s_mul_hi_u32 s59, s26, s20
	s_add_u32 s58, s60, s58
	s_addc_u32 s4, s59, s4
	s_add_u32 s44, s58, s44
	s_addc_u32 s45, s4, s45
	s_mul_i32 s49, s22, s30
	s_mul_i32 s51, s24, s33
	s_and_b32 s4, s44, 0x3ffffff
	s_lshr_b64 s[44:45], s[44:45], 26
	s_mul_hi_u32 s48, s22, s30
	s_mul_hi_u32 s50, s24, s33
	s_add_u32 s49, s51, s49
	s_mul_i32 s53, s27, s6
	s_addc_u32 s48, s50, s48
	s_mul_hi_u32 s52, s27, s6
	s_add_u32 s49, s49, s53
	s_mul_i32 s55, s29, s35
	s_addc_u32 s48, s48, s52
	s_mul_hi_u32 s54, s29, s35
	s_add_u32 s49, s49, s55
	s_mul_i32 s57, s31, s36
	s_addc_u32 s48, s48, s54
	s_mul_hi_u32 s56, s31, s36
	s_add_u32 s49, s49, s57
	s_mul_i32 s1, s7, s23
	s_addc_u32 s48, s48, s56
	s_mul_hi_u32 s0, s7, s23
	s_add_u32 s1, s49, s1
	s_mul_i32 s43, s19, s25
	s_addc_u32 s0, s48, s0
	s_mul_hi_u32 s21, s19, s25
	s_add_u32 s1, s1, s43
	s_mul_i32 s47, s42, s28
	s_addc_u32 s0, s0, s21
	s_mul_hi_u32 s46, s42, s28
	s_add_u32 s1, s1, s47
	s_addc_u32 s0, s0, s46
	s_add_u32 s1, s1, s40
	s_mul_i32 s59, s4, 0x3d10
	s_addc_u32 s0, s0, s41
	s_mul_hi_u32 s58, s4, 0x3d10
	s_add_u32 s1, s1, s59
	s_addc_u32 s0, s0, s58
	s_add_u32 s16, s1, s16
	s_addc_u32 s17, s0, s17
	s_lshr_b64 s[40:41], s[16:17], 26
	s_lshl_b64 s[46:47], s[4:5], 10
	s_mul_hi_u32 s4, s26, s2
	s_mul_i32 s26, s26, s2
	s_mul_hi_u32 s43, s19, s23
	s_mul_i32 s19, s19, s23
	;; [unrolled: 2-line block ×7, first 2 shown]
	s_add_u32 s6, s44, s26
	s_mul_hi_u32 s0, s7, s20
	s_mul_i32 s1, s7, s20
	s_addc_u32 s7, s45, s4
	s_and_b32 s4, s6, 0x3ffffff
	s_lshr_b64 s[20:21], s[6:7], 26
	s_add_u32 s22, s24, s22
	s_addc_u32 s24, s28, s42
	s_add_u32 s22, s22, s27
	s_addc_u32 s24, s24, s30
	s_add_u32 s22, s22, s29
	s_mul_hi_u32 s48, s31, s35
	s_mul_i32 s31, s31, s35
	s_addc_u32 s24, s24, s33
	s_add_u32 s22, s22, s31
	s_mul_hi_u32 s35, s34, s36
	s_mul_i32 s34, s34, s36
	s_addc_u32 s24, s24, s48
	s_add_u32 s22, s22, s34
	s_addc_u32 s24, s24, s35
	s_add_u32 s1, s22, s1
	;; [unrolled: 2-line block ×5, first 2 shown]
	s_mul_i32 s26, s4, 0x3d10
	s_addc_u32 s0, s0, s47
	s_mul_hi_u32 s2, s4, 0x3d10
	s_add_u32 s1, s1, s26
	s_addc_u32 s0, s0, s2
	v_mov_b32_e32 v0, s6
	s_add_u32 s24, s1, s40
	v_alignbit_b32 v0, s7, v0, 26
	s_addc_u32 s25, s0, s41
	v_readfirstlane_b32 s0, v0
	s_lshr_b64 s[22:23], s[24:25], 26
	s_lshl_b64 s[26:27], s[4:5], 10
	s_mul_hi_u32 s1, s0, 0x3d10
	s_mulk_i32 s0, 0x3d10
	s_add_u32 s0, s0, s3
	s_addc_u32 s1, s1, 0
	s_add_u32 s0, s0, s26
	s_addc_u32 s1, s1, s27
	;; [unrolled: 2-line block ×3, first 2 shown]
	s_lshr_b64 s[6:7], s[28:29], 22
	s_lshl_b64 s[20:21], s[20:21], 14
	s_add_u32 s20, s6, s20
	s_addc_u32 s21, s7, s21
	s_mul_i32 s0, s21, 0x3d1
	s_mul_hi_u32 s1, s20, 0x3d1
	s_add_i32 s1, s1, s0
	s_mul_i32 s0, s20, 0x3d1
	s_add_u32 s6, s0, s37
	s_addc_u32 s7, s1, 0
	s_lshr_b64 s[22:23], s[6:7], 26
	s_lshl_b64 s[20:21], s[20:21], 6
	s_add_u32 s0, s20, s38
	s_addc_u32 s1, s21, 0
	s_add_u32 s26, s0, s22
	s_addc_u32 s27, s1, s23
	s_lshr_b64 s[20:21], s[26:27], 26
	s_add_u32 s42, s20, s39
	v_writelane_b32 v15, s76, 35
	s_mov_b32 s0, s42
	s_mov_b32 s3, 22
	s_mov_b64 s[48:49], s[6:7]
	s_mov_b64 s[46:47], s[26:27]
	v_writelane_b32 v15, s0, 36
	s_mov_b64 s[34:35], s[8:9]
	s_mov_b64 s[30:31], s[10:11]
	;; [unrolled: 1-line block ×7, first 2 shown]
	v_writelane_b32 v15, s1, 37
.LBB0_11:                               ; =>This Inner Loop Header: Depth=1
	s_lshl_b32 s20, s34, 1
	s_lshl_b32 s23, s30, 1
	;; [unrolled: 1-line block ×4, first 2 shown]
	s_and_b32 s15, s38, 0x3ffffff
	s_and_b32 s4, s40, 0x3ffffff
	;; [unrolled: 1-line block ×6, first 2 shown]
	s_lshl_b32 s11, s42, 1
	s_and_b32 s13, s36, 0x3ffffff
	s_and_b32 s43, s17, 0x7fffffe
	;; [unrolled: 1-line block ×3, first 2 shown]
	s_mul_i32 s33, s15, s39
	s_mul_i32 s70, s25, s4
	s_mul_hi_u32 s49, s15, s39
	s_mul_hi_u32 s50, s25, s4
	s_add_u32 s70, s33, s70
	s_mul_i32 s58, s13, s11
	s_addc_u32 vcc_hi, s49, s50
	s_mul_hi_u32 s22, s13, s11
	s_mul_hi_u32 s56, s4, s4
	s_mul_i32 s57, s4, s4
	s_mul_hi_u32 s61, s4, s11
	s_mul_i32 s79, s4, s11
	s_mul_hi_u32 s95, s4, s43
	s_mul_i32 vcc_lo, s4, s43
	s_mul_hi_u32 s66, s4, s41
	s_mul_i32 s67, s4, s41
	s_mul_hi_u32 s49, s4, s39
	s_mul_i32 s50, s4, s39
	s_add_u32 s4, s70, s58
	s_mul_i32 s69, s9, s41
	s_addc_u32 s22, vcc_hi, s22
	s_mul_hi_u32 s68, s9, s41
	s_add_u32 s4, s4, s69
	s_mul_i32 s1, s7, s43
	s_addc_u32 s22, s22, s68
	s_mul_hi_u32 s0, s7, s43
	s_add_u32 s68, s4, s1
	s_addc_u32 s69, s22, s0
	s_mul_i32 s80, s15, s25
	s_and_b32 s22, s68, 0x3fffffe
	s_and_b32 s0, s48, 0x3ffffff
	s_lshr_b64 s[68:69], s[68:69], 26
	s_mul_hi_u32 s75, s15, s25
	s_add_u32 s4, s80, s57
	s_mul_i32 s74, s13, s39
	s_addc_u32 s48, s75, s56
	s_mul_hi_u32 s73, s13, s39
	s_add_u32 s4, s4, s74
	s_mul_i32 s55, s9, s11
	s_addc_u32 s48, s48, s73
	;; [unrolled: 4-line block ×3, first 2 shown]
	s_mul_hi_u32 s71, s7, s41
	s_add_u32 s4, s4, s72
	s_addc_u32 s20, s20, s71
	s_add_u32 s56, s4, s68
	s_addc_u32 s57, s20, s69
	s_and_b32 s4, s56, 0x3ffffff
	s_mul_hi_u32 s1, s0, s0
	s_mul_i32 s0, s0, s0
	s_lshr_b64 s[56:57], s[56:57], 26
	s_mul_i32 s48, s4, 0x3d10
	s_mul_hi_u32 s20, s4, 0x3d10
	s_add_u32 s68, s48, s0
	s_addc_u32 s69, s20, s1
	s_lshl_b32 s1, s40, 1
	s_and_b32 s1, s1, 0x7fffffe
	s_mul_hi_u32 s23, s15, s15
	s_mul_i32 s35, s15, s15
	s_mul_hi_u32 s17, s15, s11
	s_mul_i32 s19, s15, s11
	s_mul_i32 s84, s13, s25
	s_mul_hi_u32 s21, s15, s43
	s_mul_i32 s64, s15, s43
	s_mul_hi_u32 s63, s15, s41
	s_mul_i32 s65, s15, s41
	s_and_b32 s20, s68, 0x3fffffd
	s_lshl_b64 s[70:71], s[4:5], 10
	s_and_b32 s0, s46, 0x3ffffff
	s_lshr_b64 s[68:69], s[68:69], 26
	s_mul_hi_u32 s4, s1, s15
	s_mul_i32 s15, s1, s15
	s_mul_hi_u32 s83, s13, s25
	s_add_u32 s15, s84, s15
	s_mul_i32 s82, s9, s39
	s_addc_u32 s4, s83, s4
	s_mul_hi_u32 s81, s9, s39
	s_add_u32 s15, s15, s82
	s_mul_i32 s54, s7, s11
	s_addc_u32 s4, s4, s81
	s_mul_hi_u32 s53, s7, s11
	s_add_u32 s15, s15, s54
	s_addc_u32 s4, s4, s53
	s_add_u32 s54, s15, s56
	s_addc_u32 s55, s4, s57
	s_mul_i32 s46, s43, s0
	s_and_b32 s4, s54, 0x3ffffff
	s_lshr_b64 s[54:55], s[54:55], 26
	s_mul_hi_u32 s40, s43, s0
	s_add_u32 s46, s70, s46
	s_addc_u32 s40, s71, s40
	s_add_u32 s46, s46, s68
	s_mul_i32 s53, s4, 0x3d10
	s_addc_u32 s40, s40, s69
	s_mul_hi_u32 s15, s4, 0x3d10
	s_add_u32 s56, s46, s53
	s_addc_u32 s57, s40, s15
	s_mul_i32 s72, s13, s1
	s_and_b32 s15, s56, 0x3ffffff
	s_lshl_b64 s[68:69], s[4:5], 10
	s_lshr_b64 s[56:57], s[56:57], 26
	s_mul_hi_u32 s58, s13, s1
	s_add_u32 s4, s72, s35
	s_mul_i32 s90, s9, s25
	s_addc_u32 s23, s58, s23
	s_mul_hi_u32 s89, s9, s25
	s_add_u32 s4, s4, s90
	s_mul_i32 s88, s7, s39
	s_addc_u32 s23, s23, s89
	s_mul_hi_u32 s87, s7, s39
	s_add_u32 s4, s4, s88
	s_addc_u32 s23, s23, s87
	s_add_u32 s54, s4, s54
	s_addc_u32 s55, s23, s55
	s_mul_i32 s86, s42, s43
	s_mul_hi_u32 s48, s0, s0
	s_mul_i32 s0, s0, s0
	s_and_b32 s4, s54, 0x3ffffff
	s_lshr_b64 s[54:55], s[54:55], 26
	s_mul_hi_u32 s85, s42, s43
	s_add_u32 s0, s86, s0
	s_addc_u32 s40, s85, s48
	s_add_u32 s0, s0, s68
	s_mul_i32 s35, s4, 0x3d10
	s_addc_u32 s40, s40, s69
	s_mul_hi_u32 s23, s4, 0x3d10
	s_add_u32 s0, s0, s35
	s_addc_u32 s23, s40, s23
	s_add_u32 s56, s0, s56
	s_addc_u32 s57, s23, s57
	s_lshl_b64 s[68:69], s[4:5], 10
	s_lshl_b32 s4, s38, 1
	s_and_b32 s4, s4, 0x7fffffe
	s_mul_hi_u32 s31, s42, s42
	s_mul_i32 s37, s42, s42
	s_mul_hi_u32 s45, s13, s13
	s_mul_i32 s47, s13, s13
	;; [unrolled: 2-line block ×5, first 2 shown]
	s_mul_i32 s74, s9, s1
	s_and_b32 s23, s56, 0x3ffffff
	s_and_b32 s0, s34, 0x3ffffff
	s_lshr_b64 s[34:35], s[56:57], 26
	s_mul_hi_u32 s56, s4, s13
	s_mul_i32 s13, s4, s13
	s_mul_hi_u32 s73, s9, s1
	s_mul_hi_u32 s71, s9, s4
	s_mul_i32 s72, s9, s4
	s_mul_hi_u32 s80, s7, s4
	s_mul_i32 s81, s7, s4
	s_add_u32 s4, s74, s13
	s_mul_i32 s94, s7, s25
	s_addc_u32 s13, s73, s56
	s_mul_hi_u32 s93, s7, s25
	s_add_u32 s4, s4, s94
	s_addc_u32 s13, s13, s93
	s_add_u32 s54, s4, s54
	s_addc_u32 s55, s13, s55
	s_mul_i32 s40, s0, s43
	s_and_b32 s4, s54, 0x3ffffff
	s_lshr_b64 s[54:55], s[54:55], 26
	s_mul_hi_u32 s38, s0, s43
	s_add_u32 s40, s40, s92
	s_addc_u32 s38, s38, s91
	s_add_u32 s40, s40, s68
	s_mul_i32 s56, s4, 0x3d10
	s_addc_u32 s38, s38, s69
	s_mul_hi_u32 s13, s4, 0x3d10
	s_add_u32 s40, s40, s56
	s_addc_u32 s13, s38, s13
	s_add_u32 s34, s40, s34
	s_addc_u32 s35, s13, s35
	s_lshl_b64 s[56:57], s[4:5], 10
	s_and_b32 s13, s30, 0x3ffffff
	s_lshr_b64 s[68:69], s[34:35], 26
	s_add_u32 s4, s72, s47
	s_mul_hi_u32 s75, s7, s1
	s_mul_i32 s1, s7, s1
	s_addc_u32 s38, s71, s45
	s_add_u32 s1, s4, s1
	s_addc_u32 s4, s38, s75
	s_add_u32 s38, s1, s54
	s_mul_hi_u32 s83, s39, s13
	s_mul_i32 s84, s39, s13
	s_addc_u32 s39, s4, s55
	s_mul_i32 s48, s0, s41
	s_and_b32 s4, s38, 0x3ffffff
	s_lshr_b64 s[38:39], s[38:39], 26
	s_mul_hi_u32 s46, s0, s41
	s_add_u32 s37, s48, s37
	s_mul_i32 s35, s13, s43
	s_addc_u32 s31, s46, s31
	s_mul_hi_u32 s30, s13, s43
	s_add_u32 s35, s37, s35
	s_addc_u32 s30, s31, s30
	s_add_u32 s31, s35, s56
	s_mul_i32 s40, s4, 0x3d10
	s_addc_u32 s30, s30, s57
	s_mul_hi_u32 s1, s4, 0x3d10
	s_add_u32 s31, s31, s40
	s_addc_u32 s1, s30, s1
	s_add_u32 s30, s31, s68
	s_addc_u32 s31, s1, s69
	s_lshl_b32 s1, s36, 1
	s_and_b32 s1, s1, 0x7fffffe
	s_mul_hi_u32 s59, s9, s9
	s_mul_i32 s60, s9, s9
	s_mul_hi_u32 s25, s9, s43
	s_mul_i32 s27, s9, s43
	;; [unrolled: 2-line block ×3, first 2 shown]
	s_lshl_b64 s[40:41], s[4:5], 10
	s_lshr_b64 s[36:37], s[30:31], 26
	s_mul_hi_u32 s4, s1, s9
	s_mul_i32 s9, s1, s9
	s_add_u32 s9, s81, s9
	s_addc_u32 s4, s80, s4
	s_add_u32 s38, s9, s38
	s_addc_u32 s39, s4, s39
	s_mul_i32 s58, s11, s0
	s_and_b32 s4, s38, 0x3ffffff
	s_lshr_b64 s[38:39], s[38:39], 26
	s_mul_hi_u32 s53, s11, s0
	s_add_u32 s45, s73, s58
	s_addc_u32 s43, s43, s53
	s_add_u32 s45, s45, vcc_lo
	s_addc_u32 s43, s43, s95
	s_add_u32 s40, s45, s40
	s_mul_i32 s35, s4, 0x3d10
	s_addc_u32 s41, s43, s41
	s_mul_hi_u32 s9, s4, 0x3d10
	s_add_u32 s35, s40, s35
	s_addc_u32 s9, s41, s9
	s_add_u32 s40, s35, s36
	s_addc_u32 s41, s9, s37
	s_mul_hi_u32 s31, s7, s1
	s_mul_i32 s1, s7, s1
	s_lshl_b64 s[36:37], s[4:5], 10
	s_lshr_b64 s[46:47], s[40:41], 26
	s_add_u32 s1, s1, s60
	s_addc_u32 s4, s31, s59
	s_add_u32 s38, s1, s38
	s_addc_u32 s39, s4, s39
	s_mul_hi_u32 s70, s0, s0
	s_mul_i32 s0, s0, s0
	s_mul_i32 s82, s13, s11
	s_and_b32 s4, s38, 0x3ffffff
	s_lshr_b64 s[54:55], s[38:39], 26
	s_mul_hi_u32 s74, s13, s11
	s_add_u32 s0, s82, s0
	s_addc_u32 s31, s74, s70
	s_add_u32 s0, s0, s67
	s_addc_u32 s31, s31, s66
	;; [unrolled: 2-line block ×3, first 2 shown]
	s_add_u32 s0, s0, s36
	s_mul_i32 s9, s4, 0x3d10
	s_addc_u32 s21, s21, s37
	s_mul_hi_u32 s1, s4, 0x3d10
	s_add_u32 s0, s0, s9
	s_addc_u32 s1, s21, s1
	s_add_u32 s38, s0, s46
	s_addc_u32 s39, s1, s47
	s_lshl_b32 s0, s44, 1
	s_and_b32 s0, s0, 0x7fffffe
	s_lshl_b64 s[36:37], s[4:5], 10
	s_lshr_b64 s[44:45], s[38:39], 26
	s_mul_hi_u32 s1, s0, s7
	s_mul_i32 s0, s0, s7
	s_add_u32 s46, s54, s0
	s_addc_u32 s47, s55, s1
	s_and_b32 s4, s46, 0x3ffffff
	s_lshr_b64 s[46:47], s[46:47], 26
	s_mul_hi_u32 s51, s7, s7
	s_mul_i32 s52, s7, s7
	s_add_u32 s7, s79, s84
	s_addc_u32 s9, s61, s83
	s_add_u32 s7, s7, s65
	s_addc_u32 s9, s9, s63
	;; [unrolled: 2-line block ×3, first 2 shown]
	s_add_u32 s7, s7, s36
	s_mul_i32 s1, s4, 0x3d10
	s_addc_u32 s9, s9, s37
	s_mul_hi_u32 s0, s4, 0x3d10
	s_add_u32 s1, s7, s1
	s_addc_u32 s0, s9, s0
	s_add_u32 s36, s1, s44
	s_addc_u32 s37, s0, s45
	s_lshl_b64 s[44:45], s[4:5], 10
	s_lshr_b64 s[42:43], s[36:37], 26
	s_add_u32 s46, s46, s52
	s_addc_u32 s47, s47, s51
	s_mul_hi_u32 s11, s13, s13
	s_mul_i32 s13, s13, s13
	s_and_b32 s4, s46, 0x3ffffff
	s_lshr_b64 s[52:53], s[46:47], 26
	s_add_u32 s7, s50, s13
	s_addc_u32 s11, s49, s11
	s_add_u32 s7, s7, s19
	s_addc_u32 s11, s11, s17
	;; [unrolled: 2-line block ×4, first 2 shown]
	s_add_u32 s7, s7, s44
	s_mul_i32 s1, s4, 0x3d10
	s_addc_u32 s11, s11, s45
	s_mul_hi_u32 s0, s4, 0x3d10
	s_add_u32 s1, s7, s1
	v_mov_b32_e32 v0, s46
	s_addc_u32 s0, s11, s0
	v_alignbit_b32 v0, s47, v0, 26
	s_add_u32 s44, s1, s42
	v_readfirstlane_b32 s9, v0
	s_addc_u32 s45, s0, s43
	s_mul_hi_u32 s13, s9, 0x3d10
	s_mulk_i32 s9, 0x3d10
	s_lshl_b64 s[42:43], s[4:5], 10
	s_lshr_b64 s[46:47], s[44:45], 26
	s_add_u32 s0, s9, s22
	s_addc_u32 s1, s13, 0
	s_add_u32 s0, s0, s42
	s_addc_u32 s1, s1, s43
	;; [unrolled: 2-line block ×3, first 2 shown]
	s_lshl_b64 s[42:43], s[52:53], 14
	s_lshr_b64 s[46:47], s[50:51], 22
	s_add_u32 s42, s46, s42
	s_addc_u32 s43, s47, s43
	s_mul_hi_u32 s0, s42, 0x3d1
	s_mul_i32 s4, s43, 0x3d1
	s_mul_i32 s1, s42, 0x3d1
	s_add_i32 s0, s0, s4
	s_add_u32 s48, s1, s20
	s_addc_u32 s49, s0, 0
	s_lshl_b64 s[20:21], s[42:43], 6
	s_lshr_b64 s[42:43], s[48:49], 26
	s_add_u32 s0, s20, s15
	s_addc_u32 s1, s21, 0
	s_add_u32 s46, s0, s42
	s_addc_u32 s47, s1, s43
	s_lshr_b64 s[20:21], s[46:47], 26
	s_add_i32 s3, s3, -1
	s_add_u32 s42, s20, s23
	s_cmp_lg_u32 s3, 0
	s_cbranch_scc1 .LBB0_11
; %bb.12:
	v_readlane_b32 s2, v15, 36
	s_and_b32 s20, s34, 0x3ffffff
	s_and_b32 s23, s14, 0x3ffffff
	;; [unrolled: 1-line block ×4, first 2 shown]
	v_readlane_b32 s3, v15, 37
	s_and_b32 s4, s48, 0x3ffffff
	s_and_b32 s18, s28, 0x3fffff
	;; [unrolled: 1-line block ×5, first 2 shown]
	s_mul_i32 s16, s20, s23
	s_mul_i32 s17, s25, s33
	s_and_b32 s27, s40, 0x3ffffff
	s_and_b32 s56, s10, 0x3ffffff
	;; [unrolled: 1-line block ×9, first 2 shown]
	s_mul_hi_u32 s14, s20, s23
	s_mul_hi_u32 s12, s25, s33
	s_add_u32 s16, s17, s16
	s_mul_i32 s21, s27, s56
	s_addc_u32 s12, s12, s14
	s_mul_hi_u32 s10, s27, s56
	s_add_u32 s14, s16, s21
	s_mul_i32 s24, s28, s57
	s_addc_u32 s10, s12, s10
	;; [unrolled: 4-line block ×8, first 2 shown]
	s_mul_hi_u32 s13, s42, s22
	s_add_u32 s8, s1, s15
	s_addc_u32 s9, s0, s13
	s_and_b32 s24, s8, 0x3ffffff
	s_lshr_b64 s[8:9], s[8:9], 26
	s_mul_i32 s14, s20, s22
	s_mul_i32 s16, s25, s23
	s_mul_hi_u32 s13, s20, s22
	s_mul_hi_u32 s15, s25, s23
	s_add_u32 s14, s16, s14
	s_mul_i32 s21, s27, s33
	s_addc_u32 s13, s15, s13
	s_mul_hi_u32 s17, s27, s33
	s_add_u32 s14, s14, s21
	s_mul_i32 s34, s28, s56
	s_addc_u32 s13, s13, s17
	;; [unrolled: 4-line block ×7, first 2 shown]
	s_mul_hi_u32 s11, s42, s19
	s_add_u32 s10, s10, s12
	s_addc_u32 s6, s6, s11
	s_add_u32 s8, s10, s8
	s_addc_u32 s9, s6, s9
	s_and_b32 s6, s8, 0x3ffffff
	s_mul_i32 s1, s4, s58
	s_lshr_b64 s[8:9], s[8:9], 26
	s_mul_i32 s10, s6, 0x3d10
	s_mul_hi_u32 s0, s4, s58
	s_mul_hi_u32 s11, s6, 0x3d10
	s_add_u32 s10, s10, s1
	s_mov_b32 s7, 0
	s_addc_u32 s11, s11, s0
	s_and_b32 s34, s10, 0x3ffffff
	s_lshr_b64 s[10:11], s[10:11], 26
	s_lshl_b64 s[12:13], s[6:7], 10
	s_mul_i32 s21, s20, s19
	s_mul_i32 s35, s25, s22
	s_mul_hi_u32 s17, s20, s19
	s_mul_hi_u32 s31, s25, s22
	s_add_u32 s21, s35, s21
	s_mul_i32 s37, s27, s23
	s_addc_u32 s17, s31, s17
	s_mul_hi_u32 s36, s27, s23
	s_add_u32 s21, s21, s37
	s_mul_i32 s39, s28, s33
	s_addc_u32 s17, s17, s36
	;; [unrolled: 4-line block ×6, first 2 shown]
	s_mul_hi_u32 s6, s42, s18
	s_add_u32 s16, s21, s16
	s_addc_u32 s6, s17, s6
	s_add_u32 s8, s16, s8
	s_addc_u32 s9, s6, s9
	s_mul_i32 s1, s4, s3
	s_mul_i32 s15, s5, s58
	s_and_b32 s6, s8, 0x3ffffff
	s_lshr_b64 s[8:9], s[8:9], 26
	s_mul_hi_u32 s0, s4, s3
	s_mul_hi_u32 s14, s5, s58
	s_add_u32 s1, s15, s1
	s_addc_u32 s0, s14, s0
	s_add_u32 s1, s1, s12
	s_addc_u32 s0, s0, s13
	s_add_u32 s1, s1, s10
	s_mul_i32 s17, s6, 0x3d10
	s_addc_u32 s0, s0, s11
	s_mul_hi_u32 s16, s6, 0x3d10
	s_add_u32 s10, s1, s17
	s_addc_u32 s11, s0, s16
	s_and_b32 s35, s10, 0x3ffffff
	s_lshr_b64 s[10:11], s[10:11], 26
	s_lshl_b64 s[12:13], s[6:7], 10
	s_mul_i32 s21, s20, s18
	s_mul_i32 s36, s25, s19
	s_mul_hi_u32 s6, s20, s18
	s_mul_hi_u32 s31, s25, s19
	s_add_u32 s21, s36, s21
	s_mul_i32 s38, s27, s22
	s_addc_u32 s6, s31, s6
	s_mul_hi_u32 s37, s27, s22
	s_add_u32 s21, s21, s38
	s_mul_i32 s40, s28, s23
	s_addc_u32 s6, s6, s37
	s_mul_hi_u32 s39, s28, s23
	s_add_u32 s21, s21, s40
	s_mul_i32 s43, s29, s33
	s_addc_u32 s6, s6, s39
	s_mul_hi_u32 s41, s29, s33
	s_add_u32 s21, s21, s43
	s_mul_i32 s45, s30, s56
	s_addc_u32 s6, s6, s41
	s_mul_hi_u32 s44, s30, s56
	s_add_u32 s21, s21, s45
	s_mul_i32 s47, s26, s57
	s_addc_u32 s6, s6, s44
	s_mul_hi_u32 s46, s26, s57
	s_add_u32 s21, s21, s47
	s_addc_u32 s6, s6, s46
	s_add_u32 s8, s21, s8
	s_addc_u32 s9, s6, s9
	s_mul_i32 s1, s4, s2
	s_mul_i32 s15, s5, s3
	s_and_b32 s6, s8, 0x3ffffff
	s_lshr_b64 s[8:9], s[8:9], 26
	s_mul_hi_u32 s0, s4, s2
	s_mul_hi_u32 s14, s5, s3
	s_add_u32 s1, s15, s1
	s_mul_i32 s17, s42, s58
	s_addc_u32 s0, s14, s0
	s_mul_hi_u32 s16, s42, s58
	s_add_u32 s1, s1, s17
	s_addc_u32 s0, s0, s16
	s_add_u32 s1, s1, s12
	s_mul_i32 s31, s6, 0x3d10
	s_addc_u32 s0, s0, s13
	s_mul_hi_u32 s21, s6, 0x3d10
	s_add_u32 s1, s1, s31
	s_addc_u32 s0, s0, s21
	s_add_u32 s10, s1, s10
	s_addc_u32 s11, s0, s11
	s_and_b32 s36, s10, 0x3ffffff
	s_lshr_b64 s[10:11], s[10:11], 26
	s_lshl_b64 s[12:13], s[6:7], 10
	s_mul_i32 s14, s25, s18
	s_mul_i32 s39, s27, s19
	s_mul_hi_u32 s6, s25, s18
	s_mul_hi_u32 s15, s27, s19
	s_add_u32 s14, s39, s14
	s_mul_i32 s41, s28, s22
	s_addc_u32 s6, s15, s6
	s_mul_hi_u32 s40, s28, s22
	s_add_u32 s14, s14, s41
	s_mul_i32 s44, s29, s23
	s_addc_u32 s6, s6, s40
	;; [unrolled: 4-line block ×4, first 2 shown]
	s_mul_hi_u32 s47, s26, s56
	s_add_u32 s14, s14, s48
	s_addc_u32 s6, s6, s47
	s_add_u32 s8, s14, s8
	s_addc_u32 s9, s6, s9
	s_mul_i32 s1, s4, s57
	s_mul_i32 s38, s20, s58
	s_and_b32 s6, s8, 0x3ffffff
	s_lshr_b64 s[14:15], s[8:9], 26
	s_mul_hi_u32 s0, s4, s57
	s_mul_hi_u32 s37, s20, s58
	s_add_u32 s1, s1, s38
	s_mul_i32 s17, s5, s2
	s_addc_u32 s0, s0, s37
	s_mul_hi_u32 s16, s5, s2
	s_add_u32 s1, s1, s17
	s_mul_i32 s31, s42, s3
	s_addc_u32 s0, s0, s16
	s_mul_hi_u32 s21, s42, s3
	s_add_u32 s1, s1, s31
	s_addc_u32 s0, s0, s21
	s_add_u32 s1, s1, s12
	s_mul_i32 s9, s6, 0x3d10
	s_addc_u32 s0, s0, s13
	s_mul_hi_u32 s8, s6, 0x3d10
	s_add_u32 s1, s1, s9
	s_addc_u32 s0, s0, s8
	s_add_u32 s8, s1, s10
	s_addc_u32 s9, s0, s11
	s_lshr_b64 s[10:11], s[8:9], 26
	s_lshl_b64 s[12:13], s[6:7], 10
	s_mul_i32 s41, s27, s18
	s_mul_i32 s44, s28, s19
	s_mul_hi_u32 s6, s27, s18
	s_mul_hi_u32 s43, s28, s19
	s_add_u32 s41, s44, s41
	s_mul_i32 s46, s29, s22
	s_addc_u32 s6, s43, s6
	s_mul_hi_u32 s45, s29, s22
	s_add_u32 s41, s41, s46
	s_mul_i32 s48, s30, s23
	s_addc_u32 s6, s6, s45
	;; [unrolled: 4-line block ×3, first 2 shown]
	s_mul_hi_u32 s49, s26, s33
	s_add_u32 s41, s41, s50
	s_addc_u32 s6, s6, s49
	s_add_u32 s14, s41, s14
	s_addc_u32 s15, s6, s15
	s_mul_i32 s38, s20, s3
	s_mul_i32 s40, s25, s58
	s_and_b32 s6, s14, 0x3ffffff
	s_lshr_b64 s[14:15], s[14:15], 26
	s_mul_hi_u32 s37, s20, s3
	s_mul_hi_u32 s39, s25, s58
	s_add_u32 s38, s40, s38
	s_mul_i32 s1, s4, s56
	s_addc_u32 s37, s39, s37
	s_mul_hi_u32 s0, s4, s56
	s_add_u32 s1, s38, s1
	s_mul_i32 s17, s5, s57
	s_addc_u32 s0, s37, s0
	;; [unrolled: 4-line block ×3, first 2 shown]
	s_mul_hi_u32 s21, s42, s2
	s_add_u32 s1, s1, s31
	s_addc_u32 s0, s0, s21
	s_add_u32 s1, s1, s12
	s_mul_i32 s43, s6, 0x3d10
	s_addc_u32 s0, s0, s13
	s_mul_hi_u32 s41, s6, 0x3d10
	s_add_u32 s1, s1, s43
	s_addc_u32 s0, s0, s41
	s_add_u32 s10, s1, s10
	s_addc_u32 s11, s0, s11
	s_lshr_b64 s[12:13], s[10:11], 26
	s_lshl_b64 s[16:17], s[6:7], 10
	s_mul_i32 s46, s28, s18
	s_mul_i32 s48, s29, s19
	s_mul_hi_u32 s6, s28, s18
	s_mul_hi_u32 s47, s29, s19
	s_add_u32 s46, s48, s46
	s_mul_i32 s50, s30, s22
	s_addc_u32 s6, s47, s6
	s_mul_hi_u32 s49, s30, s22
	s_add_u32 s46, s46, s50
	s_mul_i32 s52, s26, s23
	s_addc_u32 s6, s6, s49
	s_mul_hi_u32 s51, s26, s23
	s_add_u32 s46, s46, s52
	s_addc_u32 s6, s6, s51
	s_add_u32 s14, s46, s14
	s_addc_u32 s15, s6, s15
	s_mul_i32 s40, s20, s2
	s_mul_i32 s43, s25, s3
	s_and_b32 s6, s14, 0x3ffffff
	s_lshr_b64 s[14:15], s[14:15], 26
	s_mul_hi_u32 s39, s20, s2
	s_mul_hi_u32 s41, s25, s3
	s_add_u32 s40, s43, s40
	s_mul_i32 s45, s27, s58
	s_addc_u32 s39, s41, s39
	s_mul_hi_u32 s44, s27, s58
	s_add_u32 s40, s40, s45
	s_mul_i32 s1, s4, s33
	s_addc_u32 s39, s39, s44
	;; [unrolled: 4-line block ×4, first 2 shown]
	s_mul_hi_u32 s37, s42, s57
	s_add_u32 s1, s1, s38
	s_addc_u32 s0, s0, s37
	s_add_u32 s1, s1, s16
	s_mul_i32 s47, s6, 0x3d10
	s_addc_u32 s0, s0, s17
	s_mul_hi_u32 s46, s6, 0x3d10
	s_add_u32 s1, s1, s47
	s_addc_u32 s0, s0, s46
	s_add_u32 s12, s1, s12
	s_addc_u32 s13, s0, s13
	s_lshr_b64 s[16:17], s[12:13], 26
	s_lshl_b64 s[38:39], s[6:7], 10
	s_mul_i32 s40, s29, s18
	s_mul_i32 s52, s30, s19
	s_mul_hi_u32 s6, s29, s18
	s_mul_hi_u32 s41, s30, s19
	s_add_u32 s40, s52, s40
	s_mul_i32 s54, s26, s22
	s_addc_u32 s6, s41, s6
	s_mul_hi_u32 s53, s26, s22
	s_add_u32 s40, s40, s54
	s_addc_u32 s6, s6, s53
	s_add_u32 s14, s40, s14
	s_addc_u32 s15, s6, s15
	s_mul_i32 s45, s20, s57
	s_mul_i32 s47, s25, s2
	s_and_b32 s6, s14, 0x3ffffff
	s_lshr_b64 s[40:41], s[14:15], 26
	s_mul_hi_u32 s44, s20, s57
	s_mul_hi_u32 s46, s25, s2
	s_add_u32 s45, s47, s45
	s_mul_i32 s49, s27, s3
	s_addc_u32 s44, s46, s44
	s_mul_hi_u32 s48, s27, s3
	s_add_u32 s45, s45, s49
	s_mul_i32 s51, s28, s58
	s_addc_u32 s44, s44, s48
	s_mul_hi_u32 s50, s28, s58
	s_add_u32 s45, s45, s51
	s_mul_i32 s1, s4, s23
	s_addc_u32 s44, s44, s50
	s_mul_hi_u32 s0, s4, s23
	s_add_u32 s1, s45, s1
	s_mul_i32 s31, s5, s33
	s_addc_u32 s0, s44, s0
	s_mul_hi_u32 s21, s5, s33
	s_add_u32 s1, s1, s31
	s_mul_i32 s43, s42, s56
	s_addc_u32 s0, s0, s21
	s_mul_hi_u32 s37, s42, s56
	s_add_u32 s1, s1, s43
	s_addc_u32 s0, s0, s37
	s_add_u32 s1, s1, s38
	s_mul_i32 s15, s6, 0x3d10
	s_addc_u32 s0, s0, s39
	s_mul_hi_u32 s14, s6, 0x3d10
	s_add_u32 s1, s1, s15
	s_addc_u32 s0, s0, s14
	s_add_u32 s14, s1, s16
	s_addc_u32 s15, s0, s17
	s_lshr_b64 s[16:17], s[14:15], 26
	s_lshl_b64 s[38:39], s[6:7], 10
	s_mul_i32 s54, s30, s18
	s_mul_i32 s60, s26, s19
	s_mul_hi_u32 s6, s30, s18
	s_mul_hi_u32 s55, s26, s19
	s_add_u32 s54, s60, s54
	s_addc_u32 s6, s55, s6
	s_add_u32 s40, s54, s40
	s_addc_u32 s41, s6, s41
	s_mul_i32 s45, s20, s56
	s_mul_i32 s47, s25, s57
	s_and_b32 s6, s40, 0x3ffffff
	s_lshr_b64 s[40:41], s[40:41], 26
	s_mul_hi_u32 s44, s20, s56
	s_mul_hi_u32 s46, s25, s57
	s_add_u32 s45, s47, s45
	s_mul_i32 s49, s27, s2
	s_addc_u32 s44, s46, s44
	s_mul_hi_u32 s48, s27, s2
	s_add_u32 s45, s45, s49
	s_mul_i32 s51, s28, s3
	s_addc_u32 s44, s44, s48
	;; [unrolled: 4-line block ×6, first 2 shown]
	s_mul_hi_u32 s37, s42, s33
	s_add_u32 s1, s1, s43
	s_addc_u32 s0, s0, s37
	s_add_u32 s1, s1, s38
	s_mul_i32 s55, s6, 0x3d10
	s_addc_u32 s0, s0, s39
	s_mul_hi_u32 s54, s6, 0x3d10
	s_add_u32 s1, s1, s55
	s_addc_u32 s0, s0, s54
	s_add_u32 s16, s1, s16
	s_addc_u32 s17, s0, s17
	s_lshr_b64 s[38:39], s[16:17], 26
	s_lshl_b64 s[44:45], s[6:7], 10
	s_mul_hi_u32 s31, s5, s22
	s_mul_i32 s37, s5, s22
	s_mul_hi_u32 s5, s26, s18
	s_mul_i32 s26, s26, s18
	s_mul_hi_u32 s0, s4, s19
	s_mul_i32 s1, s4, s19
	s_add_u32 s4, s40, s26
	s_addc_u32 s5, s41, s5
	s_mul_hi_u32 s46, s20, s33
	s_mul_i32 s47, s20, s33
	s_mul_hi_u32 s48, s25, s56
	s_mul_i32 s25, s25, s56
	s_and_b32 s6, s4, 0x3ffffff
	s_lshr_b64 s[20:21], s[4:5], 26
	s_add_u32 s25, s25, s47
	s_mul_hi_u32 s49, s27, s57
	s_mul_i32 s27, s27, s57
	s_addc_u32 s41, s48, s46
	s_add_u32 s25, s25, s27
	s_mul_hi_u32 s50, s28, s2
	s_mul_i32 s28, s28, s2
	s_addc_u32 s27, s41, s49
	;; [unrolled: 4-line block ×4, first 2 shown]
	s_add_u32 s25, s25, s30
	s_addc_u32 s27, s27, s52
	s_add_u32 s1, s25, s1
	s_addc_u32 s0, s27, s0
	s_add_u32 s1, s1, s37
	s_mul_hi_u32 s43, s42, s23
	s_mul_i32 s42, s42, s23
	s_addc_u32 s0, s0, s31
	s_add_u32 s1, s1, s42
	s_addc_u32 s0, s0, s43
	s_add_u32 s1, s1, s44
	s_mul_i32 s40, s6, 0x3d10
	s_addc_u32 s0, s0, s45
	s_mul_hi_u32 s26, s6, 0x3d10
	s_add_u32 s1, s1, s40
	s_addc_u32 s0, s0, s26
	v_mov_b32_e32 v0, s4
	s_add_u32 s46, s1, s38
	v_alignbit_b32 v0, s5, v0, 26
	s_addc_u32 s47, s0, s39
	v_readfirstlane_b32 s0, v0
	s_lshr_b64 s[28:29], s[46:47], 26
	s_lshl_b64 s[30:31], s[6:7], 10
	s_mul_hi_u32 s1, s0, 0x3d10
	s_mulk_i32 s0, 0x3d10
	s_add_u32 s0, s0, s24
	s_addc_u32 s1, s1, 0
	s_add_u32 s0, s0, s30
	s_addc_u32 s1, s1, s31
	;; [unrolled: 2-line block ×3, first 2 shown]
	s_lshr_b64 s[4:5], s[52:53], 22
	s_lshl_b64 s[20:21], s[20:21], 14
	s_add_u32 s4, s4, s20
	v_writelane_b32 v15, s19, 38
	s_addc_u32 s5, s5, s21
	v_writelane_b32 v15, s22, 39
	s_mul_i32 s0, s5, 0x3d1
	s_mul_hi_u32 s1, s4, 0x3d1
	v_writelane_b32 v15, s23, 40
	s_add_i32 s1, s1, s0
	s_mul_i32 s0, s4, 0x3d1
	v_writelane_b32 v15, s33, 41
	s_add_u32 s50, s0, s34
	v_writelane_b32 v15, s56, 42
	s_addc_u32 s51, s1, 0
	v_writelane_b32 v15, s57, 43
	s_lshr_b64 s[20:21], s[50:51], 26
	s_lshl_b64 s[4:5], s[4:5], 6
	v_writelane_b32 v15, s3, 44
	s_add_u32 s0, s4, s35
	v_writelane_b32 v15, s58, 45
	s_addc_u32 s1, s5, 0
	v_writelane_b32 v15, s18, 46
	s_add_u32 s48, s0, s20
	s_mov_b32 s0, s50
	s_addc_u32 s49, s1, s21
	v_writelane_b32 v15, s0, 47
	v_writelane_b32 v15, s1, 48
	s_mov_b32 s0, s48
	v_writelane_b32 v15, s0, 49
	v_writelane_b32 v15, s1, 50
	s_mov_b32 s0, s46
	s_lshr_b64 s[4:5], s[48:49], 26
	v_writelane_b32 v15, s0, 51
	s_add_u32 s2, s4, s36
	v_writelane_b32 v15, s1, 52
	s_mov_b32 s0, s52
	s_mov_b64 s[22:23], s[10:11]
	s_mov_b64 s[56:57], s[12:13]
	;; [unrolled: 1-line block ×4, first 2 shown]
	s_mov_b32 s5, 44
	s_mov_b64 s[44:45], s[2:3]
	s_mov_b64 s[36:37], s[8:9]
	;; [unrolled: 1-line block ×5, first 2 shown]
	s_mov_b32 s4, s16
	s_mov_b64 s[38:39], s[16:17]
	v_writelane_b32 v15, s0, 53
	v_writelane_b32 v15, s1, 54
.LBB0_13:                               ; =>This Inner Loop Header: Depth=1
	s_lshl_b32 s27, s36, 1
	s_lshl_b32 s31, s34, 1
	s_lshl_b32 s20, s50, 1
	s_lshl_b32 s25, s48, 1
	s_and_b32 s17, s40, 0x3ffffff
	s_and_b32 s6, s42, 0x3ffffff
	;; [unrolled: 1-line block ×6, first 2 shown]
	s_lshl_b32 s13, s44, 1
	s_and_b32 s15, s38, 0x3ffffff
	s_and_b32 s45, s20, 0x7fffffe
	;; [unrolled: 1-line block ×3, first 2 shown]
	s_mul_i32 s54, s17, s41
	s_mul_i32 s70, s51, s6
	s_mul_hi_u32 s55, s17, s41
	s_mul_hi_u32 s60, s51, s6
	s_add_u32 s70, s54, s70
	s_mul_i32 s85, s15, s13
	s_addc_u32 s76, s55, s60
	s_mul_hi_u32 s29, s15, s13
	s_mul_hi_u32 s83, s6, s6
	s_mul_i32 s84, s6, s6
	s_mul_hi_u32 s88, s6, s13
	s_mul_i32 s89, s6, s13
	;; [unrolled: 2-line block ×5, first 2 shown]
	s_add_u32 s6, s70, s85
	s_mul_i32 s69, s11, s43
	s_addc_u32 s29, s76, s29
	s_mul_hi_u32 s68, s11, s43
	s_add_u32 s6, s6, s69
	s_mul_i32 s1, s9, s45
	s_addc_u32 s29, s29, s68
	s_mul_hi_u32 s0, s9, s45
	s_add_u32 s68, s6, s1
	s_addc_u32 s69, s29, s0
	s_mul_i32 s90, s17, s51
	s_and_b32 s29, s68, 0x3fffffe
	s_and_b32 s0, s50, 0x3ffffff
	s_lshr_b64 s[68:69], s[68:69], 26
	s_mul_hi_u32 s75, s17, s51
	s_add_u32 s6, s90, s84
	s_mul_i32 s74, s15, s41
	s_addc_u32 s50, s75, s83
	s_mul_hi_u32 s73, s15, s41
	s_add_u32 s6, s6, s74
	s_mul_i32 s82, s11, s13
	s_addc_u32 s50, s50, s73
	s_mul_hi_u32 s27, s11, s13
	s_add_u32 s6, s6, s82
	s_mul_i32 s72, s9, s43
	s_addc_u32 s27, s50, s27
	s_mul_hi_u32 s71, s9, s43
	s_add_u32 s6, s6, s72
	s_addc_u32 s27, s27, s71
	s_add_u32 s68, s6, s68
	s_addc_u32 s69, s27, s69
	s_and_b32 s6, s68, 0x3ffffff
	s_mul_hi_u32 s1, s0, s0
	s_mul_i32 s0, s0, s0
	s_lshr_b64 s[68:69], s[68:69], 26
	s_mul_i32 s50, s6, 0x3d10
	s_mul_hi_u32 s27, s6, 0x3d10
	s_add_u32 s70, s50, s0
	s_addc_u32 s71, s27, s1
	s_lshl_b32 s1, s42, 1
	s_and_b32 s1, s1, 0x7fffffe
	s_mul_hi_u32 s31, s17, s17
	s_mul_i32 s37, s17, s17
	s_mul_hi_u32 s20, s17, s13
	s_mul_i32 s25, s17, s13
	s_mul_i32 s94, s15, s51
	s_mul_hi_u32 s21, s17, s45
	s_mul_i32 s64, s17, s45
	s_mul_hi_u32 s63, s17, s43
	s_mul_i32 s65, s17, s43
	s_and_b32 s27, s70, 0x3fffffd
	s_lshl_b64 s[82:83], s[6:7], 10
	s_and_b32 s0, s48, 0x3ffffff
	s_lshr_b64 s[70:71], s[70:71], 26
	s_mul_hi_u32 s6, s1, s17
	s_mul_i32 s17, s1, s17
	s_mul_hi_u32 s93, s15, s51
	s_add_u32 s17, s94, s17
	s_mul_i32 s92, s11, s41
	s_addc_u32 s6, s93, s6
	s_mul_hi_u32 s91, s11, s41
	s_add_u32 s17, s17, s92
	s_mul_i32 s81, s9, s13
	s_addc_u32 s6, s6, s91
	s_mul_hi_u32 s80, s9, s13
	s_add_u32 s17, s17, s81
	s_addc_u32 s6, s6, s80
	s_add_u32 s68, s17, s68
	s_addc_u32 s69, s6, s69
	s_mul_i32 s48, s45, s0
	s_and_b32 s6, s68, 0x3ffffff
	s_lshr_b64 s[68:69], s[68:69], 26
	s_mul_hi_u32 s42, s45, s0
	s_add_u32 s48, s82, s48
	s_addc_u32 s42, s83, s42
	s_add_u32 s48, s48, s70
	s_mul_i32 s80, s6, 0x3d10
	s_addc_u32 s42, s42, s71
	s_mul_hi_u32 s17, s6, 0x3d10
	s_add_u32 s70, s48, s80
	s_addc_u32 s71, s42, s17
	s_mul_i32 s73, s15, s1
	s_and_b32 s17, s70, 0x3ffffff
	s_lshl_b64 s[80:81], s[6:7], 10
	s_lshr_b64 s[70:71], s[70:71], 26
	s_mul_hi_u32 s72, s15, s1
	s_add_u32 s6, s73, s37
	s_mul_i32 s12, s11, s51
	s_addc_u32 s31, s72, s31
	s_mul_hi_u32 s10, s11, s51
	s_add_u32 s6, s6, s12
	s_mul_i32 s8, s9, s41
	s_addc_u32 s10, s31, s10
	s_mul_hi_u32 vcc_hi, s9, s41
	s_add_u32 s6, s6, s8
	s_addc_u32 s8, s10, vcc_hi
	s_add_u32 s68, s6, s68
	s_addc_u32 s69, s8, s69
	s_mul_i32 vcc_lo, s44, s45
	s_mul_hi_u32 s50, s0, s0
	s_mul_i32 s0, s0, s0
	s_and_b32 s6, s68, 0x3ffffff
	s_lshr_b64 s[68:69], s[68:69], 26
	s_mul_hi_u32 s95, s44, s45
	s_add_u32 s0, vcc_lo, s0
	s_addc_u32 s12, s95, s50
	s_add_u32 s0, s0, s80
	s_mul_i32 s10, s6, 0x3d10
	s_addc_u32 s12, s12, s81
	s_mul_hi_u32 s8, s6, 0x3d10
	s_add_u32 s0, s0, s10
	s_addc_u32 s8, s12, s8
	s_add_u32 s70, s0, s70
	s_addc_u32 s71, s8, s71
	s_lshl_b64 s[80:81], s[6:7], 10
	s_lshl_b32 s6, s40, 1
	s_and_b32 s6, s6, 0x7fffffe
	s_mul_hi_u32 s35, s44, s44
	s_mul_i32 s39, s44, s44
	s_mul_hi_u32 s47, s15, s15
	s_mul_i32 s49, s15, s15
	;; [unrolled: 2-line block ×5, first 2 shown]
	s_mul_i32 s75, s11, s1
	s_and_b32 s31, s70, 0x3ffffff
	s_and_b32 s0, s36, 0x3ffffff
	s_lshr_b64 s[36:37], s[70:71], 26
	s_mul_hi_u32 s40, s6, s15
	s_mul_i32 s15, s6, s15
	s_mul_hi_u32 s74, s11, s1
	s_mul_hi_u32 s73, s11, s6
	s_mul_i32 s82, s11, s6
	s_mul_hi_u32 s83, s9, s6
	s_mul_i32 s84, s9, s6
	s_add_u32 s6, s75, s15
	s_mul_i32 s26, s9, s51
	s_addc_u32 s15, s74, s40
	s_mul_hi_u32 s24, s9, s51
	s_add_u32 s6, s6, s26
	s_addc_u32 s15, s15, s24
	s_add_u32 s68, s6, s68
	s_addc_u32 s69, s15, s69
	s_mul_i32 s10, s0, s45
	s_and_b32 s6, s68, 0x3ffffff
	s_lshr_b64 s[68:69], s[68:69], 26
	s_mul_hi_u32 s8, s0, s45
	s_add_u32 s10, s10, s16
	s_addc_u32 s8, s8, s14
	s_add_u32 s10, s10, s80
	s_mul_i32 s24, s6, 0x3d10
	s_addc_u32 s8, s8, s81
	s_mul_hi_u32 s15, s6, 0x3d10
	s_add_u32 s10, s10, s24
	s_addc_u32 s8, s8, s15
	s_add_u32 s36, s10, s36
	s_addc_u32 s37, s8, s37
	s_lshl_b64 s[70:71], s[6:7], 10
	s_and_b32 s15, s34, 0x3ffffff
	s_lshr_b64 s[80:81], s[36:37], 26
	s_add_u32 s6, s82, s49
	s_mul_hi_u32 s76, s9, s1
	s_mul_i32 s1, s9, s1
	s_addc_u32 s34, s73, s47
	s_add_u32 s1, s6, s1
	s_addc_u32 s6, s34, s76
	s_add_u32 s40, s1, s68
	s_mul_hi_u32 s51, s11, s45
	s_mul_i32 s52, s11, s45
	s_mul_hi_u32 s8, s15, s45
	s_mul_i32 s10, s15, s45
	s_mul_hi_u32 s37, s41, s15
	s_mul_i32 s45, s41, s15
	s_addc_u32 s41, s6, s69
	s_mul_i32 s42, s0, s43
	s_and_b32 s6, s40, 0x3ffffff
	s_lshr_b64 s[40:41], s[40:41], 26
	s_mul_hi_u32 s12, s0, s43
	s_add_u32 s39, s42, s39
	s_addc_u32 s12, s12, s35
	s_add_u32 s10, s39, s10
	s_addc_u32 s8, s12, s8
	s_add_u32 s10, s10, s70
	s_mul_i32 s34, s6, 0x3d10
	s_addc_u32 s8, s8, s71
	s_mul_hi_u32 s1, s6, 0x3d10
	s_add_u32 s10, s10, s34
	s_addc_u32 s1, s8, s1
	s_add_u32 s34, s10, s80
	s_addc_u32 s35, s1, s81
	s_lshl_b32 s1, s38, 1
	s_and_b32 s1, s1, 0x7fffffe
	s_mul_hi_u32 s14, s15, s43
	s_mul_i32 s16, s15, s43
	s_lshl_b64 s[42:43], s[6:7], 10
	s_lshr_b64 s[38:39], s[34:35], 26
	s_mul_i32 s8, s1, s11
	s_mul_hi_u32 s6, s1, s11
	s_add_u32 s8, s84, s8
	s_addc_u32 s6, s83, s6
	s_add_u32 s40, s8, s40
	s_addc_u32 s41, s6, s41
	s_mul_i32 s50, s13, s0
	s_and_b32 s6, s40, 0x3ffffff
	s_lshr_b64 s[40:41], s[40:41], 26
	s_mul_hi_u32 s48, s13, s0
	s_add_u32 s12, s16, s50
	s_addc_u32 s14, s14, s48
	s_add_u32 s12, s12, s30
	s_addc_u32 s14, s14, s28
	s_add_u32 s12, s12, s42
	s_mul_hi_u32 s86, s11, s11
	s_mul_i32 s87, s11, s11
	s_mul_i32 s11, s6, 0x3d10
	s_addc_u32 s14, s14, s43
	s_mul_hi_u32 s8, s6, 0x3d10
	s_add_u32 s11, s12, s11
	s_addc_u32 s8, s14, s8
	s_add_u32 s42, s11, s38
	s_addc_u32 s43, s8, s39
	s_mul_hi_u32 s10, s9, s1
	s_mul_i32 s1, s9, s1
	s_lshl_b64 s[38:39], s[6:7], 10
	s_lshr_b64 s[48:49], s[42:43], 26
	s_add_u32 s1, s1, s87
	s_addc_u32 s6, s10, s86
	s_add_u32 s40, s1, s40
	s_addc_u32 s41, s6, s41
	s_mul_hi_u32 s72, s0, s0
	s_mul_i32 s0, s0, s0
	s_mul_i32 s26, s15, s13
	s_and_b32 s6, s40, 0x3ffffff
	s_lshr_b64 s[68:69], s[40:41], 26
	s_mul_hi_u32 s24, s15, s13
	s_add_u32 s0, s26, s0
	s_addc_u32 s10, s24, s72
	s_add_u32 s0, s0, s67
	s_addc_u32 s10, s10, s66
	;; [unrolled: 2-line block ×3, first 2 shown]
	s_add_u32 s0, s0, s38
	s_mul_i32 s8, s6, 0x3d10
	s_addc_u32 s10, s10, s39
	s_mul_hi_u32 s1, s6, 0x3d10
	s_add_u32 s0, s0, s8
	s_addc_u32 s1, s10, s1
	s_add_u32 s40, s0, s48
	s_addc_u32 s41, s1, s49
	s_lshl_b32 s0, s46, 1
	s_and_b32 s0, s0, 0x7fffffe
	s_lshl_b64 s[38:39], s[6:7], 10
	s_lshr_b64 s[46:47], s[40:41], 26
	s_mul_hi_u32 s1, s0, s9
	s_mul_i32 s0, s0, s9
	s_add_u32 s48, s68, s0
	s_addc_u32 s49, s69, s1
	s_and_b32 s6, s48, 0x3ffffff
	s_lshr_b64 s[48:49], s[48:49], 26
	s_add_u32 s8, s89, s45
	s_mul_hi_u32 s61, s9, s9
	s_mul_i32 s79, s9, s9
	s_addc_u32 s9, s88, s37
	s_add_u32 s8, s8, s65
	s_addc_u32 s9, s9, s63
	s_add_u32 s8, s8, s62
	;; [unrolled: 2-line block ×3, first 2 shown]
	s_mul_i32 s1, s6, 0x3d10
	s_addc_u32 s9, s9, s39
	s_mul_hi_u32 s0, s6, 0x3d10
	s_add_u32 s1, s8, s1
	s_addc_u32 s0, s9, s0
	s_add_u32 s38, s1, s46
	s_addc_u32 s39, s0, s47
	s_lshl_b64 s[46:47], s[6:7], 10
	s_lshr_b64 s[44:45], s[38:39], 26
	s_add_u32 s48, s48, s79
	s_addc_u32 s49, s49, s61
	s_mul_hi_u32 s13, s15, s15
	s_mul_i32 s15, s15, s15
	s_and_b32 s6, s48, 0x3ffffff
	s_lshr_b64 s[62:63], s[48:49], 26
	s_add_u32 s8, s60, s15
	s_addc_u32 s10, s55, s13
	s_add_u32 s8, s8, s25
	s_addc_u32 s10, s10, s20
	;; [unrolled: 2-line block ×4, first 2 shown]
	s_add_u32 s8, s8, s46
	s_mul_i32 s1, s6, 0x3d10
	s_addc_u32 s10, s10, s47
	s_mul_hi_u32 s0, s6, 0x3d10
	s_add_u32 s1, s8, s1
	v_mov_b32_e32 v0, s48
	s_addc_u32 s0, s10, s0
	v_alignbit_b32 v0, s49, v0, 26
	s_add_u32 s46, s1, s44
	v_readfirstlane_b32 s9, v0
	s_addc_u32 s47, s0, s45
	s_mul_hi_u32 s11, s9, 0x3d10
	s_mulk_i32 s9, 0x3d10
	s_lshl_b64 s[20:21], s[6:7], 10
	s_lshr_b64 s[44:45], s[46:47], 26
	s_add_u32 s0, s9, s29
	s_addc_u32 s1, s11, 0
	s_add_u32 s0, s0, s20
	s_addc_u32 s1, s1, s21
	;; [unrolled: 2-line block ×3, first 2 shown]
	s_lshl_b64 s[20:21], s[62:63], 14
	s_lshr_b64 s[44:45], s[52:53], 22
	s_add_u32 s20, s44, s20
	s_addc_u32 s21, s45, s21
	s_mul_hi_u32 s0, s20, 0x3d1
	s_mul_i32 s6, s21, 0x3d1
	s_mul_i32 s1, s20, 0x3d1
	s_add_i32 s0, s0, s6
	s_add_u32 s50, s1, s27
	s_addc_u32 s51, s0, 0
	s_lshl_b64 s[20:21], s[20:21], 6
	s_lshr_b64 s[44:45], s[50:51], 26
	s_add_u32 s0, s20, s17
	s_addc_u32 s1, s21, 0
	s_add_u32 s48, s0, s44
	s_addc_u32 s49, s1, s45
	s_lshr_b64 s[20:21], s[48:49], 26
	s_add_i32 s5, s5, -1
	s_add_u32 s44, s20, s31
	s_cmp_lg_u32 s5, 0
	s_cbranch_scc1 .LBB0_13
; %bb.14:
	v_writelane_b32 v15, s78, 55
	v_writelane_b32 v15, s77, 56
	s_and_b32 s93, s18, 0x3ffffff
	v_readlane_b32 s18, v15, 49
	v_readlane_b32 s19, v15, 50
	;; [unrolled: 1-line block ×4, first 2 shown]
	s_and_b32 s29, s36, 0x3ffffff
	s_and_b32 s20, s58, 0x3ffffff
	;; [unrolled: 1-line block ×5, first 2 shown]
	v_readlane_b32 s18, v15, 47
	s_and_b32 s9, s50, 0x3ffffff
	s_and_b32 s5, s0, 0x3fffff
	;; [unrolled: 1-line block ×5, first 2 shown]
	s_mul_i32 s13, s29, s20
	s_mul_i32 s15, s30, s61
	s_and_b32 s31, s42, 0x3ffffff
	s_and_b32 s92, s22, 0x3ffffff
	;; [unrolled: 1-line block ×7, first 2 shown]
	s_mul_hi_u32 s12, s29, s20
	s_mul_hi_u32 s14, s30, s61
	s_add_u32 s13, s15, s13
	s_mul_i32 s17, s31, s92
	s_addc_u32 s12, s14, s12
	s_mul_hi_u32 s16, s31, s92
	s_add_u32 s13, s13, s17
	s_mul_i32 s24, s34, s93
	s_addc_u32 s12, s12, s16
	;; [unrolled: 4-line block ×5, first 2 shown]
	v_readlane_b32 s1, v15, 54
	s_mul_hi_u32 s39, s28, s95
	s_add_u32 s13, s13, s40
	s_mul_i32 s1, s9, s5
	s_addc_u32 s12, s12, s39
	s_mul_hi_u32 s0, s9, s5
	s_add_u32 s1, s13, s1
	s_mul_i32 s8, s25, s60
	s_addc_u32 s0, s12, s0
	s_mul_hi_u32 s6, s25, s60
	s_add_u32 s1, s1, s8
	v_readlane_b32 s11, v15, 52
	s_mul_i32 s10, s44, s79
	s_addc_u32 s0, s0, s6
	s_mul_hi_u32 s11, s44, s79
	s_add_u32 s10, s1, s10
	s_addc_u32 s11, s0, s11
	s_and_b32 s8, s10, 0x3ffffff
	s_lshr_b64 s[10:11], s[10:11], 26
	s_mul_i32 s16, s29, s79
	s_mul_i32 s21, s30, s20
	s_mul_hi_u32 s15, s29, s79
	s_mul_hi_u32 s17, s30, s20
	s_add_u32 s16, s21, s16
	s_mul_i32 s26, s31, s61
	s_addc_u32 s15, s17, s15
	s_mul_hi_u32 s24, s31, s61
	s_add_u32 s16, s16, s26
	s_mul_i32 s37, s34, s92
	s_addc_u32 s15, s15, s24
	;; [unrolled: 4-line block ×7, first 2 shown]
	s_mul_hi_u32 s13, s44, s60
	s_add_u32 s12, s12, s14
	s_addc_u32 s6, s6, s13
	s_add_u32 s10, s12, s10
	s_addc_u32 s11, s6, s11
	s_and_b32 s6, s10, 0x3ffffff
	s_mul_i32 s1, s9, s95
	s_lshr_b64 s[10:11], s[10:11], 26
	s_mul_i32 s12, s6, 0x3d10
	s_mul_hi_u32 s0, s9, s95
	s_mul_hi_u32 s13, s6, 0x3d10
	s_add_u32 s12, s12, s1
	s_mov_b32 s7, 0
	s_addc_u32 s13, s13, s0
	s_and_b32 s24, s12, 0x3ffffff
	s_lshr_b64 s[12:13], s[12:13], 26
	s_lshl_b64 s[14:15], s[6:7], 10
	s_mul_i32 s27, s29, s60
	s_mul_i32 s38, s30, s79
	s_mul_hi_u32 s26, s29, s60
	s_mul_hi_u32 s37, s30, s79
	s_add_u32 s27, s38, s27
	s_mul_i32 s40, s31, s20
	s_addc_u32 s26, s37, s26
	s_mul_hi_u32 s39, s31, s20
	s_add_u32 s27, s27, s40
	s_mul_i32 s42, s34, s61
	s_addc_u32 s26, s26, s39
	;; [unrolled: 4-line block ×6, first 2 shown]
	s_mul_hi_u32 s6, s44, s5
	s_add_u32 s21, s27, s21
	s_addc_u32 s6, s26, s6
	s_add_u32 s10, s21, s10
	s_addc_u32 s11, s6, s11
	s_mul_i32 s1, s9, s94
	s_mul_i32 s17, s25, s95
	s_and_b32 s6, s10, 0x3ffffff
	s_lshr_b64 s[10:11], s[10:11], 26
	s_mul_hi_u32 s0, s9, s94
	s_mul_hi_u32 s16, s25, s95
	s_add_u32 s1, s17, s1
	s_addc_u32 s0, s16, s0
	s_add_u32 s1, s1, s14
	s_addc_u32 s0, s0, s15
	s_add_u32 s1, s1, s12
	s_mul_i32 s26, s6, 0x3d10
	s_addc_u32 s0, s0, s13
	s_mul_hi_u32 s21, s6, 0x3d10
	s_add_u32 s12, s1, s26
	s_addc_u32 s13, s0, s21
	s_and_b32 s38, s12, 0x3ffffff
	s_lshr_b64 s[12:13], s[12:13], 26
	s_lshl_b64 s[14:15], s[6:7], 10
	s_mul_i32 s27, s29, s5
	s_mul_i32 s39, s30, s60
	s_mul_hi_u32 s6, s29, s5
	s_mul_hi_u32 s37, s30, s60
	s_add_u32 s27, s39, s27
	s_mul_i32 s41, s31, s79
	s_addc_u32 s6, s37, s6
	s_mul_hi_u32 s40, s31, s79
	s_add_u32 s27, s27, s41
	s_mul_i32 s43, s34, s20
	s_addc_u32 s6, s6, s40
	;; [unrolled: 4-line block ×5, first 2 shown]
	s_mul_hi_u32 s49, s28, s93
	s_add_u32 s27, s27, s50
	s_addc_u32 s6, s6, s49
	s_add_u32 s10, s27, s10
	s_addc_u32 s11, s6, s11
	s_mul_i32 s1, s9, s2
	s_mul_i32 s17, s25, s94
	s_and_b32 s6, s10, 0x3ffffff
	s_lshr_b64 s[10:11], s[10:11], 26
	s_mul_hi_u32 s0, s9, s2
	s_mul_hi_u32 s16, s25, s94
	s_add_u32 s1, s17, s1
	s_mul_i32 s26, s44, s95
	s_addc_u32 s0, s16, s0
	s_mul_hi_u32 s21, s44, s95
	s_add_u32 s1, s1, s26
	s_addc_u32 s0, s0, s21
	s_add_u32 s1, s1, s14
	s_mul_i32 s37, s6, 0x3d10
	s_addc_u32 s0, s0, s15
	s_mul_hi_u32 s27, s6, 0x3d10
	s_add_u32 s1, s1, s37
	s_addc_u32 s0, s0, s27
	s_add_u32 s12, s1, s12
	s_addc_u32 s13, s0, s13
	s_and_b32 s39, s12, 0x3ffffff
	s_lshr_b64 s[12:13], s[12:13], 26
	s_lshl_b64 s[14:15], s[6:7], 10
	s_mul_i32 s16, s30, s5
	s_mul_i32 s42, s31, s60
	s_mul_hi_u32 s6, s30, s5
	s_mul_hi_u32 s17, s31, s60
	s_add_u32 s16, s42, s16
	s_mul_i32 s45, s34, s79
	s_addc_u32 s6, s17, s6
	s_mul_hi_u32 s43, s34, s79
	s_add_u32 s16, s16, s45
	s_mul_i32 s47, s35, s20
	s_addc_u32 s6, s6, s43
	;; [unrolled: 4-line block ×4, first 2 shown]
	s_mul_hi_u32 s50, s28, s92
	s_add_u32 s16, s16, s51
	s_addc_u32 s6, s6, s50
	s_add_u32 s10, s16, s10
	s_addc_u32 s11, s6, s11
	s_mul_i32 s1, s9, s93
	s_mul_i32 s41, s29, s95
	s_and_b32 s6, s10, 0x3ffffff
	s_lshr_b64 s[16:17], s[10:11], 26
	s_mul_hi_u32 s0, s9, s93
	s_mul_hi_u32 s40, s29, s95
	s_add_u32 s1, s1, s41
	s_mul_i32 s26, s25, s2
	s_addc_u32 s0, s0, s40
	s_mul_hi_u32 s21, s25, s2
	s_add_u32 s1, s1, s26
	s_mul_i32 s37, s44, s94
	s_addc_u32 s0, s0, s21
	s_mul_hi_u32 s27, s44, s94
	s_add_u32 s1, s1, s37
	s_addc_u32 s0, s0, s27
	s_add_u32 s1, s1, s14
	s_mul_i32 s11, s6, 0x3d10
	s_addc_u32 s0, s0, s15
	s_mul_hi_u32 s10, s6, 0x3d10
	s_add_u32 s1, s1, s11
	s_addc_u32 s0, s0, s10
	s_add_u32 s10, s1, s12
	s_addc_u32 s11, s0, s13
	s_lshr_b64 s[12:13], s[10:11], 26
	s_lshl_b64 s[14:15], s[6:7], 10
	s_mul_i32 s45, s31, s5
	s_mul_i32 s47, s34, s60
	s_mul_hi_u32 s6, s31, s5
	s_mul_hi_u32 s46, s34, s60
	s_add_u32 s45, s47, s45
	s_mul_i32 s49, s35, s79
	s_addc_u32 s6, s46, s6
	s_mul_hi_u32 s48, s35, s79
	s_add_u32 s45, s45, s49
	s_mul_i32 s51, s36, s20
	s_addc_u32 s6, s6, s48
	;; [unrolled: 4-line block ×3, first 2 shown]
	s_mul_hi_u32 s52, s28, s61
	s_add_u32 s45, s45, s53
	s_addc_u32 s6, s6, s52
	s_add_u32 s16, s45, s16
	s_addc_u32 s17, s6, s17
	s_mul_i32 s41, s29, s94
	s_mul_i32 s43, s30, s95
	s_and_b32 s6, s16, 0x3ffffff
	s_lshr_b64 s[16:17], s[16:17], 26
	s_mul_hi_u32 s40, s29, s94
	s_mul_hi_u32 s42, s30, s95
	s_add_u32 s41, s43, s41
	s_mul_i32 s1, s9, s92
	s_addc_u32 s40, s42, s40
	s_mul_hi_u32 s0, s9, s92
	s_add_u32 s1, s41, s1
	s_mul_i32 s26, s25, s93
	s_addc_u32 s0, s40, s0
	;; [unrolled: 4-line block ×3, first 2 shown]
	s_mul_hi_u32 s27, s44, s2
	s_add_u32 s1, s1, s37
	s_addc_u32 s0, s0, s27
	s_add_u32 s1, s1, s14
	s_mul_i32 s46, s6, 0x3d10
	s_addc_u32 s0, s0, s15
	s_mul_hi_u32 s45, s6, 0x3d10
	s_add_u32 s1, s1, s46
	s_addc_u32 s0, s0, s45
	s_add_u32 s12, s1, s12
	s_addc_u32 s13, s0, s13
	s_lshr_b64 s[14:15], s[12:13], 26
	s_lshl_b64 s[26:27], s[6:7], 10
	s_mul_i32 s49, s34, s5
	s_mul_i32 s51, s35, s60
	s_mul_hi_u32 s6, s34, s5
	s_mul_hi_u32 s50, s35, s60
	s_add_u32 s49, s51, s49
	s_mul_i32 s53, s36, s79
	s_addc_u32 s6, s50, s6
	s_mul_hi_u32 s52, s36, s79
	s_add_u32 s49, s49, s53
	s_mul_i32 s55, s28, s20
	s_addc_u32 s6, s6, s52
	s_mul_hi_u32 s54, s28, s20
	s_add_u32 s49, s49, s55
	s_addc_u32 s6, s6, s54
	s_add_u32 s16, s49, s16
	s_addc_u32 s17, s6, s17
	s_mul_i32 s43, s29, s2
	s_mul_i32 s46, s30, s94
	s_and_b32 s6, s16, 0x3ffffff
	s_lshr_b64 s[16:17], s[16:17], 26
	s_mul_hi_u32 s42, s29, s2
	s_mul_hi_u32 s45, s30, s94
	s_add_u32 s43, s46, s43
	s_mul_i32 s48, s31, s95
	s_addc_u32 s42, s45, s42
	s_mul_hi_u32 s47, s31, s95
	s_add_u32 s43, s43, s48
	s_mul_i32 s1, s9, s61
	s_addc_u32 s42, s42, s47
	;; [unrolled: 4-line block ×4, first 2 shown]
	s_mul_hi_u32 s40, s44, s93
	s_add_u32 s1, s1, s41
	s_addc_u32 s0, s0, s40
	s_add_u32 s1, s1, s26
	s_mul_i32 s50, s6, 0x3d10
	s_addc_u32 s0, s0, s27
	s_mul_hi_u32 s49, s6, 0x3d10
	s_add_u32 s1, s1, s50
	s_addc_u32 s0, s0, s49
	s_add_u32 s14, s1, s14
	s_addc_u32 s15, s0, s15
	s_lshr_b64 s[26:27], s[14:15], 26
	s_lshl_b64 s[40:41], s[6:7], 10
	s_mul_i32 s42, s35, s5
	s_mul_i32 s55, s36, s60
	s_mul_hi_u32 s6, s35, s5
	s_mul_hi_u32 s43, s36, s60
	s_add_u32 s42, s55, s42
	s_mul_i32 s63, s28, s79
	s_addc_u32 s6, s43, s6
	s_mul_hi_u32 s62, s28, s79
	s_add_u32 s42, s42, s63
	s_addc_u32 s6, s6, s62
	s_add_u32 s16, s42, s16
	s_addc_u32 s17, s6, s17
	s_mul_i32 s48, s29, s93
	s_mul_i32 s50, s30, s2
	s_and_b32 s6, s16, 0x3ffffff
	s_lshr_b64 s[42:43], s[16:17], 26
	s_mul_hi_u32 s47, s29, s93
	s_mul_hi_u32 s49, s30, s2
	s_add_u32 s48, s50, s48
	s_mul_i32 s52, s31, s94
	s_addc_u32 s47, s49, s47
	s_mul_hi_u32 s51, s31, s94
	s_add_u32 s48, s48, s52
	s_mul_i32 s54, s34, s95
	s_addc_u32 s47, s47, s51
	;; [unrolled: 4-line block ×5, first 2 shown]
	s_mul_hi_u32 s45, s44, s92
	s_add_u32 s1, s1, s46
	s_addc_u32 s0, s0, s45
	s_add_u32 s1, s1, s40
	s_mul_i32 s17, s6, 0x3d10
	s_addc_u32 s0, s0, s41
	s_mul_hi_u32 s16, s6, 0x3d10
	s_add_u32 s1, s1, s17
	s_addc_u32 s0, s0, s16
	s_add_u32 s16, s1, s26
	s_addc_u32 s17, s0, s27
	s_lshr_b64 s[26:27], s[16:17], 26
	s_lshl_b64 s[40:41], s[6:7], 10
	s_mul_i32 s63, s36, s5
	s_mul_i32 s65, s28, s60
	s_mul_hi_u32 s6, s36, s5
	s_mul_hi_u32 s64, s28, s60
	s_add_u32 s63, s65, s63
	s_addc_u32 s6, s64, s6
	s_add_u32 s42, s63, s42
	s_addc_u32 s43, s6, s43
	s_mul_i32 s48, s29, s92
	s_mul_i32 s50, s30, s93
	s_and_b32 s6, s42, 0x3ffffff
	s_lshr_b64 s[42:43], s[42:43], 26
	s_mul_hi_u32 s47, s29, s92
	s_mul_hi_u32 s49, s30, s93
	s_add_u32 s48, s50, s48
	s_mul_i32 s52, s31, s2
	s_addc_u32 s47, s49, s47
	s_mul_hi_u32 s51, s31, s2
	s_add_u32 s48, s48, s52
	s_mul_i32 s54, s34, s94
	s_addc_u32 s47, s47, s51
	;; [unrolled: 4-line block ×6, first 2 shown]
	s_mul_hi_u32 s45, s44, s61
	s_add_u32 s1, s1, s46
	s_addc_u32 s0, s0, s45
	s_add_u32 s1, s1, s40
	s_mul_i32 s64, s6, 0x3d10
	s_addc_u32 s0, s0, s41
	s_mul_hi_u32 s63, s6, 0x3d10
	s_add_u32 s1, s1, s64
	s_addc_u32 s0, s0, s63
	v_readlane_b32 s19, v15, 48
	s_add_u32 s18, s1, s26
	s_addc_u32 s19, s0, s27
	s_mov_b32 s4, s2
	s_lshr_b64 s[40:41], s[18:19], 26
	s_lshl_b64 s[46:47], s[6:7], 10
	v_writelane_b32 v15, s4, 57
	s_mul_hi_u32 s6, s28, s5
	s_mul_i32 s28, s28, s5
	s_add_u32 s28, s42, s28
	s_mul_hi_u32 s21, s44, s20
	s_mul_i32 s37, s44, s20
	s_mul_hi_u32 s44, s29, s61
	s_mul_i32 s45, s29, s61
	s_addc_u32 s29, s43, s6
	s_mul_hi_u32 s48, s30, s92
	s_mul_i32 s30, s30, s92
	s_mul_hi_u32 s50, s34, s2
	s_mul_i32 s51, s34, s2
	;; [unrolled: 2-line block ×3, first 2 shown]
	s_and_b32 s6, s28, 0x3ffffff
	s_lshr_b64 s[34:35], s[28:29], 26
	s_add_u32 s30, s30, s45
	s_mul_hi_u32 s49, s31, s93
	s_mul_i32 s31, s31, s93
	s_addc_u32 s44, s48, s44
	s_add_u32 s30, s30, s31
	s_addc_u32 s31, s44, s49
	s_add_u32 s30, s30, s51
	s_addc_u32 s31, s31, s50
	s_add_u32 s30, s30, s53
	s_mul_hi_u32 s54, s36, s95
	s_mul_i32 s36, s36, s95
	s_addc_u32 s31, s31, s52
	s_add_u32 s30, s30, s36
	s_mul_hi_u32 s0, s9, s60
	s_mul_i32 s9, s9, s60
	s_addc_u32 s31, s31, s54
	s_add_u32 s9, s30, s9
	;; [unrolled: 4-line block ×3, first 2 shown]
	s_addc_u32 s0, s0, s1
	s_add_u32 s1, s9, s37
	s_addc_u32 s0, s0, s21
	s_add_u32 s1, s1, s46
	s_mul_i32 s43, s6, 0x3d10
	s_addc_u32 s0, s0, s47
	s_mul_hi_u32 s42, s6, 0x3d10
	s_add_u32 s1, s1, s43
	s_addc_u32 s0, s0, s42
	v_mov_b32_e32 v0, s28
	s_add_u32 s44, s1, s40
	v_alignbit_b32 v0, s29, v0, 26
	s_addc_u32 s45, s0, s41
	v_readfirstlane_b32 s0, v0
	s_lshr_b64 s[36:37], s[44:45], 26
	s_lshl_b64 s[40:41], s[6:7], 10
	s_mul_hi_u32 s1, s0, 0x3d10
	s_mulk_i32 s0, 0x3d10
	s_add_u32 s0, s0, s8
	s_addc_u32 s1, s1, 0
	s_add_u32 s0, s0, s40
	s_addc_u32 s1, s1, s41
	;; [unrolled: 2-line block ×3, first 2 shown]
	s_lshr_b64 s[8:9], s[36:37], 22
	s_lshl_b64 s[28:29], s[34:35], 14
	s_add_u32 s8, s8, s28
	s_addc_u32 s9, s9, s29
	s_mul_i32 s0, s9, 0x3d1
	s_mul_hi_u32 s1, s8, 0x3d1
	s_add_i32 s1, s1, s0
	s_mul_i32 s0, s8, 0x3d1
	s_add_u32 s52, s0, s24
	s_addc_u32 s53, s1, 0
	s_lshr_b64 s[24:25], s[52:53], 26
	s_lshl_b64 s[8:9], s[8:9], 6
	s_add_u32 s0, s8, s38
	s_addc_u32 s1, s9, 0
	v_writelane_b32 v15, s5, 58
	s_add_u32 s34, s0, s24
	s_mov_b32 s0, s52
	s_addc_u32 s35, s1, s25
	v_writelane_b32 v15, s0, 59
	v_writelane_b32 v15, s1, 60
	s_mov_b32 s0, s12
	v_writelane_b32 v15, s0, 61
	v_writelane_b32 v15, s1, 62
	s_mov_b32 s0, s14
	;; [unrolled: 3-line block ×4, first 2 shown]
	s_lshr_b64 s[8:9], s[34:35], 26
	v_writelane_b32 v14, s0, 3
	s_add_u32 s8, s8, s39
	s_movk_i32 s9, 0x58
	v_writelane_b32 v14, s1, 4
	s_mov_b32 s0, s44
	s_mov_b64 s[50:51], s[34:35]
	s_mov_b64 s[24:25], s[8:9]
	s_mov_b32 s4, s10
	s_mov_b64 s[40:41], s[10:11]
	s_mov_b64 s[38:39], s[12:13]
	;; [unrolled: 1-line block ×5, first 2 shown]
	v_writelane_b32 v14, s0, 5
	s_mov_b64 s[54:55], s[36:37]
	v_writelane_b32 v14, s1, 6
.LBB0_15:                               ; =>This Inner Loop Header: Depth=1
	s_lshl_b32 s21, s52, 1
	s_lshl_b32 s31, s50, 1
	;; [unrolled: 1-line block ×4, first 2 shown]
	s_and_b32 s25, s46, 0x3ffffff
	s_and_b32 s6, s48, 0x3ffffff
	;; [unrolled: 1-line block ×8, first 2 shown]
	s_lshl_b32 s15, s24, 1
	s_and_b32 s17, s42, 0x3ffffff
	s_mul_i32 s75, s25, s31
	s_mul_i32 s86, s21, s6
	s_mul_hi_u32 s74, s25, s31
	s_mul_hi_u32 s76, s21, s6
	s_add_u32 s75, s75, s86
	s_mul_i32 s71, s17, s15
	s_addc_u32 s74, s74, s76
	s_mul_hi_u32 s69, s17, s15
	s_mul_hi_u32 vcc_hi, s6, s6
	s_mul_i32 s63, s6, s6
	s_mul_hi_u32 s54, s6, s15
	s_mul_i32 s55, s6, s15
	s_mul_hi_u32 s3, s25, s21
	;; [unrolled: 2-line block ×8, first 2 shown]
	s_mul_i32 s89, s6, s31
	s_add_u32 s6, s75, s71
	s_mul_i32 s73, s13, s35
	s_addc_u32 s69, s74, s69
	s_mul_hi_u32 s72, s13, s35
	s_add_u32 s6, s6, s73
	s_mul_i32 s0, s11, s37
	s_addc_u32 s69, s69, s72
	s_mul_hi_u32 s1, s11, s37
	s_add_u32 s0, s6, s0
	s_addc_u32 s1, s69, s1
	s_and_b32 s6, s52, 0x3ffffff
	s_and_b32 s52, s0, 0x3fffffe
	s_lshr_b64 s[0:1], s[0:1], 26
	s_mul_hi_u32 s69, s6, s6
	s_mul_i32 s71, s6, s6
	s_add_u32 s6, s19, s63
	s_mul_i32 s2, s17, s31
	s_addc_u32 s3, s3, vcc_hi
	s_mul_hi_u32 s18, s17, s31
	s_add_u32 s2, s6, s2
	s_mul_i32 s91, s13, s15
	s_addc_u32 s3, s3, s18
	s_mul_hi_u32 s87, s13, s15
	s_add_u32 s2, s2, s91
	s_mul_i32 s78, s11, s35
	s_addc_u32 s3, s3, s87
	s_mul_hi_u32 s77, s11, s35
	s_add_u32 s2, s2, s78
	s_addc_u32 s3, s3, s77
	s_add_u32 s0, s2, s0
	s_addc_u32 s1, s3, s1
	s_and_b32 s6, s0, 0x3ffffff
	s_lshr_b64 s[0:1], s[0:1], 26
	s_mul_i32 s3, s6, 0x3d10
	s_mul_hi_u32 s2, s6, 0x3d10
	s_add_u32 s72, s3, s71
	s_addc_u32 s73, s2, s69
	s_lshl_b32 s3, s48, 1
	s_and_b32 s3, s3, 0x7fffffe
	s_mul_hi_u32 s41, s25, s25
	s_mul_i32 s49, s25, s25
	s_mul_hi_u32 s45, s25, s15
	s_mul_i32 s51, s25, s15
	;; [unrolled: 2-line block ×4, first 2 shown]
	s_and_b32 s87, s72, 0x3fffffd
	s_lshl_b64 s[74:75], s[6:7], 10
	s_and_b32 s2, s50, 0x3ffffff
	s_lshr_b64 s[72:73], s[72:73], 26
	s_mul_hi_u32 s6, s3, s25
	s_mul_i32 s25, s3, s25
	s_add_u32 s25, s56, s25
	s_mul_i32 s57, s13, s31
	s_addc_u32 s6, s58, s6
	s_mul_hi_u32 s33, s13, s31
	s_add_u32 s25, s25, s57
	s_mul_i32 s84, s11, s15
	s_addc_u32 s6, s6, s33
	s_mul_hi_u32 s83, s11, s15
	s_add_u32 s25, s25, s84
	s_addc_u32 s6, s6, s83
	s_add_u32 s0, s25, s0
	s_addc_u32 s1, s6, s1
	s_mul_i32 s19, s37, s2
	s_and_b32 s6, s0, 0x3ffffff
	s_lshr_b64 s[0:1], s[0:1], 26
	s_mul_hi_u32 s18, s37, s2
	s_add_u32 s19, s74, s19
	s_addc_u32 s18, s75, s18
	s_add_u32 s19, s19, s72
	s_mul_i32 s33, s6, 0x3d10
	s_addc_u32 s18, s18, s73
	s_mul_hi_u32 s25, s6, 0x3d10
	s_add_u32 s72, s19, s33
	s_addc_u32 s73, s18, s25
	s_mul_i32 s63, s17, s3
	s_and_b32 s25, s72, 0x3ffffff
	s_lshl_b64 s[74:75], s[6:7], 10
	s_lshr_b64 s[72:73], s[72:73], 26
	s_mul_hi_u32 s50, s17, s3
	s_add_u32 s6, s63, s49
	s_addc_u32 s18, s50, s41
	s_add_u32 s6, s6, s14
	s_mul_i32 s10, s11, s31
	s_addc_u32 s12, s18, s12
	s_mul_hi_u32 s59, s11, s31
	s_add_u32 s6, s6, s10
	s_addc_u32 s10, s12, s59
	s_add_u32 s0, s6, s0
	s_addc_u32 s1, s10, s1
	s_mul_i32 s23, s24, s37
	s_mul_hi_u32 s48, s2, s2
	s_mul_i32 s2, s2, s2
	s_and_b32 s6, s0, 0x3ffffff
	s_lshr_b64 s[0:1], s[0:1], 26
	s_mul_hi_u32 s22, s24, s37
	s_add_u32 s2, s23, s2
	s_addc_u32 s14, s22, s48
	s_add_u32 s2, s2, s74
	s_mul_i32 s12, s6, 0x3d10
	s_addc_u32 s14, s14, s75
	s_mul_hi_u32 s10, s6, 0x3d10
	s_add_u32 s2, s2, s12
	s_addc_u32 s10, s14, s10
	s_add_u32 s48, s2, s72
	s_addc_u32 s49, s10, s73
	s_lshl_b64 s[72:73], s[6:7], 10
	s_lshl_b32 s6, s46, 1
	s_and_b32 s6, s6, 0x7fffffe
	s_mul_hi_u32 s39, s17, s17
	s_mul_i32 s43, s17, s17
	s_mul_hi_u32 s90, s17, s37
	s_mul_i32 vcc_lo, s17, s37
	s_mul_hi_u32 s85, s17, s35
	s_mul_i32 s86, s17, s35
	s_mul_i32 s71, s13, s3
	s_and_b32 s63, s48, 0x3ffffff
	s_and_b32 s2, s40, 0x3ffffff
	s_lshr_b64 s[40:41], s[48:49], 26
	s_mul_hi_u32 s33, s6, s17
	s_mul_i32 s17, s6, s17
	s_mul_hi_u32 s69, s13, s3
	s_mul_hi_u32 s46, s13, s6
	s_mul_i32 s50, s13, s6
	s_mul_hi_u32 s56, s11, s6
	s_mul_i32 s57, s11, s6
	s_add_u32 s6, s71, s17
	s_addc_u32 s17, s69, s33
	s_add_u32 s6, s6, s30
	s_addc_u32 s17, s17, s28
	;; [unrolled: 2-line block ×3, first 2 shown]
	s_mul_i32 s26, s35, s24
	s_mul_i32 s12, s2, s37
	s_and_b32 s6, s0, 0x3ffffff
	s_lshr_b64 s[0:1], s[0:1], 26
	s_mul_hi_u32 s16, s35, s24
	s_mul_hi_u32 s10, s2, s37
	s_add_u32 s12, s12, s26
	s_addc_u32 s10, s10, s16
	s_add_u32 s12, s12, s72
	s_mul_i32 s28, s6, 0x3d10
	s_addc_u32 s10, s10, s73
	s_mul_hi_u32 s17, s6, 0x3d10
	s_add_u32 s12, s12, s28
	s_addc_u32 s10, s10, s17
	s_add_u32 s40, s12, s40
	s_addc_u32 s41, s10, s41
	s_lshl_b64 s[48:49], s[6:7], 10
	s_and_b32 s6, s38, 0x3ffffff
	s_lshr_b64 s[72:73], s[40:41], 26
	s_mul_hi_u32 s19, s15, s2
	s_mul_i32 s22, s15, s2
	s_mul_hi_u32 s10, s6, s37
	s_mul_i32 s12, s6, s37
	;; [unrolled: 2-line block ×6, first 2 shown]
	s_add_u32 s6, s50, s43
	s_mul_hi_u32 s76, s11, s3
	s_mul_i32 s3, s11, s3
	s_mul_hi_u32 s14, s2, s35
	s_mul_i32 s18, s2, s35
	s_addc_u32 s35, s46, s39
	s_add_u32 s3, s6, s3
	s_addc_u32 s6, s35, s76
	s_add_u32 s0, s3, s0
	s_addc_u32 s1, s6, s1
	s_mul_i32 s29, s24, s24
	s_and_b32 s6, s0, 0x3ffffff
	s_lshr_b64 s[0:1], s[0:1], 26
	s_mul_hi_u32 s27, s24, s24
	s_add_u32 s18, s18, s29
	s_addc_u32 s14, s14, s27
	s_add_u32 s12, s18, s12
	s_addc_u32 s10, s14, s10
	s_add_u32 s12, s12, s48
	s_mul_i32 s35, s6, 0x3d10
	s_addc_u32 s10, s10, s49
	s_mul_hi_u32 s3, s6, 0x3d10
	s_add_u32 s12, s12, s35
	s_addc_u32 s3, s10, s3
	s_add_u32 s38, s12, s72
	s_addc_u32 s39, s3, s73
	s_lshl_b32 s3, s42, 1
	s_and_b32 s3, s3, 0x7fffffe
	s_lshl_b64 s[48:49], s[6:7], 10
	s_lshr_b64 s[42:43], s[38:39], 26
	s_mul_i32 s10, s3, s13
	s_mul_hi_u32 s6, s3, s13
	s_add_u32 s10, s57, s10
	s_addc_u32 s6, s56, s6
	s_add_u32 s0, s10, s0
	s_addc_u32 s1, s6, s1
	s_and_b32 s6, s0, 0x3ffffff
	s_lshr_b64 s[0:1], s[0:1], 26
	s_add_u32 s14, s17, s22
	s_addc_u32 s16, s16, s19
	s_add_u32 s14, s14, s21
	s_addc_u32 s16, s16, s64
	s_add_u32 s14, s14, s48
	s_mul_hi_u32 s47, s13, s13
	s_mul_i32 s53, s13, s13
	s_mul_hi_u32 s24, s13, s37
	s_mul_i32 s82, s13, s37
	s_mul_i32 s13, s6, 0x3d10
	s_addc_u32 s16, s16, s49
	s_mul_hi_u32 s10, s6, 0x3d10
	s_add_u32 s13, s14, s13
	s_addc_u32 s10, s16, s10
	s_add_u32 s48, s13, s42
	s_addc_u32 s49, s10, s43
	s_mul_hi_u32 s12, s11, s3
	s_mul_i32 s3, s11, s3
	s_lshl_b64 s[42:43], s[6:7], 10
	s_lshr_b64 s[72:73], s[48:49], 26
	s_add_u32 s3, s3, s53
	s_addc_u32 s6, s12, s47
	s_add_u32 s0, s3, s0
	s_addc_u32 s1, s6, s1
	s_mul_hi_u32 s23, s2, s2
	s_mul_i32 s2, s2, s2
	s_and_b32 s6, s0, 0x3ffffff
	s_lshr_b64 s[0:1], s[0:1], 26
	s_add_u32 s2, s15, s2
	s_addc_u32 s12, s26, s23
	s_add_u32 s2, s2, s65
	s_addc_u32 s12, s12, s66
	;; [unrolled: 2-line block ×3, first 2 shown]
	s_add_u32 s2, s2, s42
	s_mul_i32 s10, s6, 0x3d10
	s_addc_u32 s12, s12, s43
	s_mul_hi_u32 s3, s6, 0x3d10
	s_add_u32 s2, s2, s10
	s_addc_u32 s3, s12, s3
	s_add_u32 s46, s2, s72
	s_addc_u32 s47, s3, s73
	s_lshl_b32 s2, s44, 1
	s_and_b32 s2, s2, 0x7fffffe
	s_lshl_b64 s[42:43], s[6:7], 10
	s_lshr_b64 s[64:65], s[46:47], 26
	s_mul_hi_u32 s3, s2, s11
	s_mul_i32 s2, s2, s11
	s_add_u32 s0, s0, s2
	s_addc_u32 s1, s1, s3
	s_and_b32 s6, s0, 0x3ffffff
	s_lshr_b64 s[0:1], s[0:1], 26
	s_add_u32 s10, s55, s31
	s_mul_hi_u32 s80, s11, s11
	s_mul_i32 s81, s11, s11
	s_addc_u32 s11, s54, s28
	s_add_u32 s10, s10, s70
	s_addc_u32 s11, s11, s68
	s_add_u32 s10, s10, vcc_lo
	s_addc_u32 s11, s11, s90
	s_add_u32 s10, s10, s42
	s_mul_i32 s3, s6, 0x3d10
	s_addc_u32 s11, s11, s43
	s_mul_hi_u32 s2, s6, 0x3d10
	s_add_u32 s3, s10, s3
	s_addc_u32 s2, s11, s2
	s_add_u32 s42, s3, s64
	s_addc_u32 s43, s2, s65
	s_lshl_b64 s[54:55], s[6:7], 10
	s_lshr_b64 s[64:65], s[42:43], 26
	s_add_u32 s0, s0, s81
	s_addc_u32 s1, s1, s80
	s_and_b32 s6, s0, 0x3ffffff
	v_mov_b32_e32 v0, s0
	s_lshr_b64 s[66:67], s[0:1], 26
	v_alignbit_b32 v0, s1, v0, 26
	s_add_u32 s1, s89, s33
	s_addc_u32 s10, s88, s30
	s_add_u32 s1, s1, s51
	s_addc_u32 s10, s10, s45
	;; [unrolled: 2-line block ×4, first 2 shown]
	s_add_u32 s1, s1, s54
	s_mul_i32 s2, s6, 0x3d10
	s_addc_u32 s10, s10, s55
	s_mul_hi_u32 s0, s6, 0x3d10
	s_add_u32 s1, s1, s2
	s_addc_u32 s0, s10, s0
	s_add_u32 s44, s1, s64
	v_readfirstlane_b32 s3, v0
	s_addc_u32 s45, s0, s65
	s_mul_hi_u32 s11, s3, 0x3d10
	s_mulk_i32 s3, 0x3d10
	s_lshl_b64 s[0:1], s[6:7], 10
	s_lshr_b64 s[50:51], s[44:45], 26
	s_add_u32 s2, s3, s52
	s_addc_u32 s3, s11, 0
	s_add_u32 s0, s2, s0
	s_addc_u32 s1, s3, s1
	;; [unrolled: 2-line block ×3, first 2 shown]
	s_lshl_b64 s[0:1], s[66:67], 14
	s_lshr_b64 s[50:51], s[54:55], 22
	s_add_u32 s0, s50, s0
	s_addc_u32 s1, s51, s1
	s_mul_hi_u32 s2, s0, 0x3d1
	s_mul_i32 s6, s1, 0x3d1
	s_mul_i32 s3, s0, 0x3d1
	s_add_i32 s2, s2, s6
	s_add_u32 s52, s3, s87
	s_addc_u32 s53, s2, 0
	s_lshl_b64 s[0:1], s[0:1], 6
	s_lshr_b64 s[50:51], s[52:53], 26
	s_add_u32 s0, s0, s25
	s_addc_u32 s1, s1, 0
	s_add_u32 s50, s0, s50
	s_addc_u32 s51, s1, s51
	s_lshr_b64 s[0:1], s[50:51], 26
	s_add_i32 s9, s9, -1
	s_add_u32 s24, s0, s63
	s_cmp_lg_u32 s9, 0
	s_cbranch_scc1 .LBB0_15
; %bb.16:
	v_readlane_b32 s10, v14, 1
	v_readlane_b32 s12, v15, 63
	;; [unrolled: 1-line block ×4, first 2 shown]
	s_and_b32 s35, s40, 0x3ffffff
	v_readlane_b32 s11, v14, 2
	s_and_b32 s39, s10, 0x3ffffff
	s_and_b32 s37, s38, 0x3ffffff
	v_readlane_b32 s13, v14, 0
	s_and_b32 s40, s12, 0x3ffffff
	v_readlane_b32 s14, v15, 61
	v_readlane_b32 s26, v15, 59
	s_and_b32 s29, s52, 0x3ffffff
	s_and_b32 s9, s36, 0x3fffff
	;; [unrolled: 1-line block ×5, first 2 shown]
	s_mul_i32 s11, s35, s39
	s_mul_i32 s13, s37, s40
	s_and_b32 s38, s48, 0x3ffffff
	s_and_b32 s43, s14, 0x3ffffff
	;; [unrolled: 1-line block ×9, first 2 shown]
	s_mul_hi_u32 s10, s35, s39
	s_mul_hi_u32 s12, s37, s40
	v_readlane_b32 s15, v15, 62
	s_add_u32 s11, s13, s11
	s_mul_i32 s15, s38, s43
	s_addc_u32 s10, s12, s10
	s_mul_hi_u32 s14, s38, s43
	s_add_u32 s11, s11, s15
	s_mul_i32 s17, s41, s45
	s_addc_u32 s10, s10, s14
	s_mul_hi_u32 s16, s41, s45
	;; [unrolled: 4-line block ×6, first 2 shown]
	v_readlane_b32 s3, v14, 6
	s_add_u32 s1, s11, s1
	s_mul_i32 s3, s31, s30
	s_addc_u32 s0, s10, s0
	s_mul_hi_u32 s2, s31, s30
	v_readlane_b32 s7, v14, 4
	s_add_u32 s1, s1, s3
	s_mul_i32 s7, s24, s36
	s_addc_u32 s2, s0, s2
	s_mul_hi_u32 s6, s24, s36
	s_add_u32 s0, s1, s7
	s_addc_u32 s1, s2, s6
	s_and_b32 s25, s0, 0x3ffffff
	s_lshr_b64 s[0:1], s[0:1], 26
	s_mul_i32 s14, s35, s36
	s_mul_i32 s16, s37, s39
	s_mul_hi_u32 s13, s35, s36
	s_mul_hi_u32 s15, s37, s39
	s_add_u32 s14, s16, s14
	s_mul_i32 s18, s38, s40
	s_addc_u32 s13, s15, s13
	s_mul_hi_u32 s17, s38, s40
	s_add_u32 s14, s14, s18
	s_mul_i32 s21, s41, s43
	s_addc_u32 s13, s13, s17
	;; [unrolled: 4-line block ×3, first 2 shown]
	v_readlane_b32 s27, v15, 60
	s_mul_hi_u32 s22, s42, s45
	s_add_u32 s14, s14, s23
	s_mul_i32 s27, s44, s8
	s_addc_u32 s13, s13, s22
	s_mul_hi_u32 s26, s44, s8
	s_add_u32 s14, s14, s27
	s_mul_i32 s47, s34, s46
	s_addc_u32 s13, s13, s26
	;; [unrolled: 4-line block ×4, first 2 shown]
	s_mul_hi_u32 s11, s24, s30
	s_add_u32 s10, s10, s12
	s_addc_u32 s6, s6, s11
	s_add_u32 s0, s10, s0
	s_addc_u32 s1, s6, s1
	s_and_b32 s6, s0, 0x3ffffff
	s_mul_i32 s3, s29, s28
	s_lshr_b64 s[0:1], s[0:1], 26
	s_mul_i32 s10, s6, 0x3d10
	s_mul_hi_u32 s2, s29, s28
	s_mul_hi_u32 s11, s6, 0x3d10
	s_add_u32 s10, s10, s3
	s_mov_b32 s7, 0
	s_addc_u32 s11, s11, s2
	s_and_b32 s47, s10, 0x3ffffff
	s_lshr_b64 s[10:11], s[10:11], 26
	s_lshl_b64 s[12:13], s[6:7], 10
	s_mul_i32 s18, s35, s30
	s_mul_i32 s21, s37, s36
	s_mul_hi_u32 s17, s35, s30
	s_mul_hi_u32 s19, s37, s36
	s_add_u32 s18, s21, s18
	s_mul_i32 s23, s38, s39
	s_addc_u32 s17, s19, s17
	s_mul_hi_u32 s22, s38, s39
	s_add_u32 s18, s18, s23
	s_mul_i32 s27, s41, s40
	s_addc_u32 s17, s17, s22
	;; [unrolled: 4-line block ×6, first 2 shown]
	s_mul_hi_u32 s6, s24, s9
	s_add_u32 s16, s18, s16
	s_addc_u32 s6, s17, s6
	s_add_u32 s0, s16, s0
	s_addc_u32 s1, s6, s1
	s_mul_i32 s3, s29, s46
	s_mul_i32 s15, s31, s28
	s_and_b32 s6, s0, 0x3ffffff
	s_lshr_b64 s[0:1], s[0:1], 26
	s_mul_hi_u32 s2, s29, s46
	s_mul_hi_u32 s14, s31, s28
	s_add_u32 s3, s15, s3
	s_addc_u32 s2, s14, s2
	s_add_u32 s3, s3, s12
	s_addc_u32 s2, s2, s13
	s_add_u32 s3, s3, s10
	s_mul_i32 s17, s6, 0x3d10
	s_addc_u32 s2, s2, s11
	s_mul_hi_u32 s16, s6, 0x3d10
	s_add_u32 s10, s3, s17
	s_addc_u32 s11, s2, s16
	s_and_b32 s48, s10, 0x3ffffff
	s_lshr_b64 s[10:11], s[10:11], 26
	s_lshl_b64 s[12:13], s[6:7], 10
	s_mul_i32 s18, s35, s9
	s_mul_i32 s21, s37, s30
	s_mul_hi_u32 s6, s35, s9
	s_mul_hi_u32 s19, s37, s30
	s_add_u32 s18, s21, s18
	s_mul_i32 s23, s38, s36
	s_addc_u32 s6, s19, s6
	s_mul_hi_u32 s22, s38, s36
	s_add_u32 s18, s18, s23
	s_mul_i32 s27, s41, s39
	s_addc_u32 s6, s6, s22
	;; [unrolled: 4-line block ×5, first 2 shown]
	s_mul_hi_u32 s52, s34, s45
	s_add_u32 s18, s18, s53
	s_addc_u32 s6, s6, s52
	s_add_u32 s0, s18, s0
	s_addc_u32 s1, s6, s1
	s_mul_i32 s3, s29, s8
	s_mul_i32 s15, s31, s46
	s_and_b32 s6, s0, 0x3ffffff
	s_lshr_b64 s[0:1], s[0:1], 26
	s_mul_hi_u32 s2, s29, s8
	s_mul_hi_u32 s14, s31, s46
	s_add_u32 s3, s15, s3
	s_mul_i32 s17, s24, s28
	s_addc_u32 s2, s14, s2
	s_mul_hi_u32 s16, s24, s28
	s_add_u32 s3, s3, s17
	s_addc_u32 s2, s2, s16
	s_add_u32 s3, s3, s12
	s_mul_i32 s19, s6, 0x3d10
	s_addc_u32 s2, s2, s13
	s_mul_hi_u32 s18, s6, 0x3d10
	s_add_u32 s3, s3, s19
	s_addc_u32 s2, s2, s18
	s_add_u32 s10, s3, s10
	s_addc_u32 s11, s2, s11
	s_and_b32 s49, s10, 0x3ffffff
	s_lshr_b64 s[10:11], s[10:11], 26
	s_lshl_b64 s[12:13], s[6:7], 10
	s_mul_i32 s21, s37, s9
	s_mul_i32 s23, s38, s30
	s_mul_hi_u32 s6, s37, s9
	s_mul_hi_u32 s22, s38, s30
	s_add_u32 s21, s23, s21
	s_mul_i32 s27, s41, s36
	s_addc_u32 s6, s22, s6
	s_mul_hi_u32 s26, s41, s36
	s_add_u32 s21, s21, s27
	s_mul_i32 s50, s42, s39
	s_addc_u32 s6, s6, s26
	;; [unrolled: 4-line block ×4, first 2 shown]
	s_mul_hi_u32 s53, s34, s43
	s_add_u32 s21, s21, s54
	s_addc_u32 s6, s6, s53
	s_add_u32 s0, s21, s0
	s_addc_u32 s1, s6, s1
	s_mul_i32 s3, s29, s45
	s_mul_i32 s19, s35, s28
	s_and_b32 s6, s0, 0x3ffffff
	s_lshr_b64 s[0:1], s[0:1], 26
	s_mul_hi_u32 s2, s29, s45
	s_mul_hi_u32 s18, s35, s28
	s_add_u32 s3, s3, s19
	s_mul_i32 s15, s31, s8
	s_addc_u32 s2, s2, s18
	s_mul_hi_u32 s14, s31, s8
	s_add_u32 s3, s3, s15
	s_mul_i32 s17, s24, s46
	s_addc_u32 s2, s2, s14
	s_mul_hi_u32 s16, s24, s46
	s_add_u32 s3, s3, s17
	s_addc_u32 s2, s2, s16
	s_add_u32 s3, s3, s12
	s_mul_i32 s22, s6, 0x3d10
	s_addc_u32 s2, s2, s13
	s_mul_hi_u32 s21, s6, 0x3d10
	s_add_u32 s3, s3, s22
	s_addc_u32 s2, s2, s21
	s_add_u32 s10, s3, s10
	s_addc_u32 s11, s2, s11
	s_lshr_b64 s[12:13], s[10:11], 26
	s_lshl_b64 s[14:15], s[6:7], 10
	s_mul_i32 s26, s38, s9
	s_mul_i32 s33, s41, s30
	s_mul_hi_u32 s6, s38, s9
	s_mul_hi_u32 s27, s41, s30
	s_add_u32 s26, s33, s26
	s_mul_i32 s51, s42, s36
	s_addc_u32 s6, s27, s6
	s_mul_hi_u32 s50, s42, s36
	s_add_u32 s26, s26, s51
	s_mul_i32 s53, s44, s39
	s_addc_u32 s6, s6, s50
	;; [unrolled: 4-line block ×3, first 2 shown]
	s_mul_hi_u32 s54, s34, s40
	s_add_u32 s26, s26, s55
	s_addc_u32 s6, s6, s54
	s_add_u32 s0, s26, s0
	s_addc_u32 s1, s6, s1
	s_mul_i32 s21, s35, s46
	s_mul_i32 s23, s37, s28
	s_and_b32 s6, s0, 0x3ffffff
	s_lshr_b64 s[0:1], s[0:1], 26
	s_mul_hi_u32 s19, s35, s46
	s_mul_hi_u32 s22, s37, s28
	s_add_u32 s21, s23, s21
	s_mul_i32 s3, s29, s43
	s_addc_u32 s19, s22, s19
	s_mul_hi_u32 s2, s29, s43
	s_add_u32 s3, s21, s3
	s_mul_i32 s16, s31, s45
	s_addc_u32 s2, s19, s2
	;; [unrolled: 4-line block ×3, first 2 shown]
	s_mul_hi_u32 s17, s24, s8
	s_add_u32 s3, s3, s18
	s_addc_u32 s2, s2, s17
	s_add_u32 s3, s3, s14
	s_mul_i32 s27, s6, 0x3d10
	s_addc_u32 s2, s2, s15
	s_mul_hi_u32 s26, s6, 0x3d10
	s_add_u32 s3, s3, s27
	s_addc_u32 s2, s2, s26
	s_add_u32 s12, s3, s12
	s_addc_u32 s13, s2, s13
	s_lshr_b64 s[14:15], s[12:13], 26
	s_lshl_b64 s[16:17], s[6:7], 10
	s_mul_i32 s50, s41, s9
	s_mul_i32 s52, s42, s30
	s_mul_hi_u32 s6, s41, s9
	s_mul_hi_u32 s51, s42, s30
	s_add_u32 s50, s52, s50
	s_mul_i32 s54, s44, s36
	s_addc_u32 s6, s51, s6
	s_mul_hi_u32 s53, s44, s36
	s_add_u32 s50, s50, s54
	s_mul_i32 s56, s34, s39
	s_addc_u32 s6, s6, s53
	s_mul_hi_u32 s55, s34, s39
	s_add_u32 s50, s50, s56
	s_addc_u32 s6, s6, s55
	s_add_u32 s0, s50, s0
	s_addc_u32 s1, s6, s1
	s_mul_i32 s22, s35, s8
	s_mul_i32 s26, s37, s46
	s_and_b32 s6, s0, 0x3ffffff
	s_lshr_b64 s[0:1], s[0:1], 26
	s_mul_hi_u32 s21, s35, s8
	s_mul_hi_u32 s23, s37, s46
	s_add_u32 s22, s26, s22
	s_mul_i32 s33, s38, s28
	s_addc_u32 s21, s23, s21
	s_mul_hi_u32 s27, s38, s28
	s_add_u32 s22, s22, s33
	s_mul_i32 s3, s29, s40
	s_addc_u32 s21, s21, s27
	;; [unrolled: 4-line block ×4, first 2 shown]
	s_mul_hi_u32 s18, s24, s45
	s_add_u32 s3, s3, s19
	s_addc_u32 s2, s2, s18
	s_add_u32 s3, s3, s16
	s_mul_i32 s51, s6, 0x3d10
	s_addc_u32 s2, s2, s17
	s_mul_hi_u32 s50, s6, 0x3d10
	s_add_u32 s3, s3, s51
	s_addc_u32 s2, s2, s50
	s_add_u32 s14, s3, s14
	s_addc_u32 s15, s2, s15
	s_lshr_b64 s[16:17], s[14:15], 26
	s_lshl_b64 s[26:27], s[6:7], 10
	s_mul_i32 s53, s42, s9
	s_mul_i32 s55, s44, s30
	s_mul_hi_u32 s6, s42, s9
	s_mul_hi_u32 s54, s44, s30
	s_add_u32 s53, s55, s53
	s_mul_i32 s57, s34, s36
	s_addc_u32 s6, s54, s6
	s_mul_hi_u32 s56, s34, s36
	s_add_u32 s53, s53, s57
	s_addc_u32 s6, s6, s56
	s_add_u32 s0, s53, s0
	s_addc_u32 s1, s6, s1
	s_mul_i32 s21, s35, s45
	s_mul_i32 s23, s37, s8
	s_and_b32 s6, s0, 0x3ffffff
	s_lshr_b64 s[0:1], s[0:1], 26
	s_mul_hi_u32 s19, s35, s45
	s_mul_hi_u32 s22, s37, s8
	s_add_u32 s21, s23, s21
	s_mul_i32 s50, s38, s46
	s_addc_u32 s19, s22, s19
	s_mul_hi_u32 s33, s38, s46
	s_add_u32 s21, s21, s50
	s_mul_i32 s52, s41, s28
	s_addc_u32 s19, s19, s33
	;; [unrolled: 4-line block ×5, first 2 shown]
	s_mul_hi_u32 s15, s24, s43
	s_add_u32 s3, s3, s18
	s_addc_u32 s2, s2, s15
	s_add_u32 s3, s3, s26
	s_mul_i32 s54, s6, 0x3d10
	s_addc_u32 s2, s2, s27
	s_mul_hi_u32 s53, s6, 0x3d10
	s_add_u32 s3, s3, s54
	s_addc_u32 s2, s2, s53
	s_add_u32 s16, s3, s16
	s_addc_u32 s17, s2, s17
	s_lshr_b64 s[26:27], s[16:17], 26
	s_lshl_b64 s[50:51], s[6:7], 10
	s_mul_i32 s56, s44, s9
	s_mul_i32 s58, s34, s30
	s_mul_hi_u32 s6, s44, s9
	s_mul_hi_u32 s57, s34, s30
	s_add_u32 s56, s58, s56
	s_addc_u32 s6, s57, s6
	s_add_u32 s0, s56, s0
	s_addc_u32 s1, s6, s1
	s_mul_i32 s19, s35, s43
	s_mul_i32 s22, s37, s45
	s_and_b32 s6, s0, 0x3ffffff
	s_lshr_b64 s[0:1], s[0:1], 26
	s_mul_hi_u32 s18, s35, s43
	s_mul_hi_u32 s21, s37, s45
	s_add_u32 s19, s22, s19
	s_mul_i32 s33, s38, s8
	s_addc_u32 s18, s21, s18
	s_mul_hi_u32 s23, s38, s8
	s_add_u32 s19, s19, s33
	s_mul_i32 s53, s41, s46
	s_addc_u32 s18, s18, s23
	;; [unrolled: 4-line block ×6, first 2 shown]
	s_mul_hi_u32 s15, s24, s40
	s_add_u32 s3, s3, s17
	s_addc_u32 s2, s2, s15
	s_add_u32 s3, s3, s50
	s_mul_i32 s57, s6, 0x3d10
	s_addc_u32 s2, s2, s51
	s_mul_hi_u32 s56, s6, 0x3d10
	s_add_u32 s3, s3, s57
	s_addc_u32 s2, s2, s56
	s_add_u32 s26, s3, s26
	s_addc_u32 s27, s2, s27
	s_lshr_b64 s[50:51], s[26:27], 26
	s_lshl_b64 s[52:53], s[6:7], 10
	s_mul_hi_u32 s6, s34, s9
	s_mul_i32 s34, s34, s9
	s_add_u32 s0, s0, s34
	s_addc_u32 s1, s1, s6
	s_mul_hi_u32 s2, s29, s30
	s_mul_i32 s3, s29, s30
	s_mul_hi_u32 s17, s35, s40
	s_mul_i32 s35, s35, s40
	;; [unrolled: 2-line block ×4, first 2 shown]
	s_and_b32 s6, s0, 0x3ffffff
	s_lshr_b64 s[28:29], s[0:1], 26
	s_mul_hi_u32 s13, s24, s39
	s_mul_i32 s15, s24, s39
	s_add_u32 s24, s37, s35
	s_mul_hi_u32 s19, s38, s45
	s_mul_i32 s38, s38, s45
	s_addc_u32 s17, s18, s17
	s_add_u32 s18, s24, s38
	s_mul_hi_u32 s21, s41, s8
	s_mul_i32 s41, s41, s8
	s_addc_u32 s17, s17, s19
	;; [unrolled: 4-line block ×3, first 2 shown]
	s_add_u32 s18, s18, s42
	s_addc_u32 s8, s17, s8
	s_add_u32 s17, s18, s44
	s_addc_u32 s8, s8, s22
	s_add_u32 s3, s17, s3
	s_mul_hi_u32 s11, s31, s36
	s_mul_i32 s31, s31, s36
	s_addc_u32 s2, s8, s2
	s_add_u32 s3, s3, s31
	s_addc_u32 s2, s2, s11
	s_add_u32 s3, s3, s15
	;; [unrolled: 2-line block ×3, first 2 shown]
	s_mul_i32 s23, s6, 0x3d10
	s_addc_u32 s2, s2, s53
	s_mul_hi_u32 s9, s6, 0x3d10
	s_add_u32 s3, s3, s23
	s_addc_u32 s2, s2, s9
	v_mov_b32_e32 v0, s0
	s_add_u32 s8, s3, s50
	v_alignbit_b32 v0, s1, v0, 26
	s_addc_u32 s9, s2, s51
	v_readfirstlane_b32 s0, v0
	s_lshr_b64 s[30:31], s[8:9], 26
	s_lshl_b64 s[34:35], s[6:7], 10
	s_mul_hi_u32 s1, s0, 0x3d10
	s_mulk_i32 s0, 0x3d10
	s_add_u32 s0, s0, s25
	s_addc_u32 s1, s1, 0
	s_add_u32 s0, s0, s34
	s_addc_u32 s1, s1, s35
	;; [unrolled: 2-line block ×3, first 2 shown]
	s_lshr_b64 s[0:1], s[30:31], 22
	s_lshl_b64 s[24:25], s[28:29], 14
	s_add_u32 s0, s0, s24
	s_addc_u32 s1, s1, s25
	s_mul_i32 s2, s1, 0x3d1
	s_mul_hi_u32 s3, s0, 0x3d1
	s_add_i32 s3, s3, s2
	s_mul_i32 s2, s0, 0x3d1
	s_add_u32 s28, s2, s47
	s_addc_u32 s29, s3, 0
	s_lshr_b64 s[24:25], s[28:29], 26
	s_lshl_b64 s[0:1], s[0:1], 6
	s_add_u32 s0, s0, s48
	s_addc_u32 s1, s1, 0
	s_add_u32 s24, s0, s24
	s_addc_u32 s25, s1, s25
	s_lshr_b64 s[0:1], s[24:25], 26
	s_add_u32 s25, s0, s49
	s_mov_b32 s34, 44
.LBB0_17:                               ; =>This Inner Loop Header: Depth=1
	s_and_b32 s9, s30, 0x3fffff
	s_lshl_b32 s21, s28, 1
	s_lshl_b32 s30, s24, 1
	;; [unrolled: 1-line block ×4, first 2 shown]
	s_and_b32 s17, s16, 0x3ffffff
	s_and_b32 s6, s14, 0x3ffffff
	;; [unrolled: 1-line block ×7, first 2 shown]
	s_lshl_b32 s13, s25, 1
	s_and_b32 s11, s26, 0x3ffffff
	s_mul_i32 s19, s17, s30
	s_mul_i32 s23, s21, s6
	s_mul_hi_u32 s18, s17, s30
	s_mul_hi_u32 s22, s21, s6
	s_add_u32 s19, s19, s23
	s_mul_i32 s71, s11, s13
	s_addc_u32 s18, s18, s22
	s_mul_hi_u32 s69, s11, s13
	s_mul_hi_u32 s83, s6, s6
	s_mul_i32 s63, s6, s6
	s_mul_hi_u32 s42, s6, s13
	s_mul_i32 s43, s6, s13
	;; [unrolled: 2-line block ×5, first 2 shown]
	s_mul_hi_u32 vcc_hi, s9, s21
	s_mul_i32 s4, s9, s21
	s_mul_hi_u32 s64, s6, s35
	s_mul_i32 s21, s6, s35
	s_mul_hi_u32 s66, s6, s31
	;; [unrolled: 2-line block ×3, first 2 shown]
	s_mul_i32 s55, s6, s30
	s_add_u32 s6, s19, s71
	s_mul_i32 s3, s15, s31
	s_addc_u32 s18, s18, s69
	s_mul_hi_u32 s2, s15, s31
	s_add_u32 s3, s6, s3
	s_mul_i32 s0, s9, s35
	s_addc_u32 s2, s18, s2
	s_mul_hi_u32 s1, s9, s35
	s_add_u32 s0, s3, s0
	s_addc_u32 s1, s2, s1
	s_and_b32 s2, s28, 0x3ffffff
	s_and_b32 s28, s0, 0x3fffffe
	s_lshr_b64 s[0:1], s[0:1], 26
	s_add_u32 s6, s72, s63
	s_mul_i32 s58, s11, s30
	s_addc_u32 s18, s59, s83
	s_mul_hi_u32 s57, s11, s30
	s_add_u32 s6, s6, s58
	s_mul_i32 s81, s15, s13
	s_addc_u32 s18, s18, s57
	s_mul_hi_u32 s53, s15, s13
	;; [unrolled: 4-line block ×3, first 2 shown]
	s_add_u32 s6, s6, s56
	s_addc_u32 s18, s18, s33
	s_add_u32 s0, s6, s0
	s_addc_u32 s1, s18, s1
	s_and_b32 s6, s0, 0x3ffffff
	s_mul_hi_u32 s3, s2, s2
	s_mul_i32 s2, s2, s2
	s_lshr_b64 s[0:1], s[0:1], 26
	s_mul_i32 s19, s6, 0x3d10
	s_mul_hi_u32 s18, s6, 0x3d10
	s_add_u32 s72, s19, s2
	s_addc_u32 s73, s18, s3
	s_lshl_b32 s3, s14, 1
	s_and_b32 s3, s3, 0x7fffffe
	s_mul_hi_u32 s46, s17, s17
	s_mul_i32 s47, s17, s17
	s_mul_hi_u32 s38, s17, s13
	s_mul_i32 s39, s17, s13
	;; [unrolled: 2-line block ×4, first 2 shown]
	s_and_b32 s53, s72, 0x3fffffd
	s_lshl_b64 s[74:75], s[6:7], 10
	s_and_b32 s2, s24, 0x3ffffff
	s_lshr_b64 s[72:73], s[72:73], 26
	s_mul_hi_u32 s6, s3, s17
	s_mul_i32 s17, s3, s17
	s_add_u32 s17, s84, s17
	s_mul_i32 s77, s15, s30
	s_addc_u32 s6, s78, s6
	s_mul_hi_u32 s76, s15, s30
	s_add_u32 s17, s17, s77
	s_mul_i32 s50, s9, s13
	s_addc_u32 s6, s6, s76
	s_mul_hi_u32 s49, s9, s13
	s_add_u32 s17, s17, s50
	s_addc_u32 s6, s6, s49
	s_add_u32 s0, s17, s0
	s_addc_u32 s1, s6, s1
	s_mul_i32 s18, s35, s2
	s_and_b32 s6, s0, 0x3ffffff
	s_lshr_b64 s[0:1], s[0:1], 26
	s_mul_hi_u32 s14, s35, s2
	s_add_u32 s18, s74, s18
	s_addc_u32 s14, s75, s14
	s_add_u32 s18, s18, s72
	s_mul_i32 s24, s6, 0x3d10
	s_addc_u32 s14, s14, s73
	s_mul_hi_u32 s17, s6, 0x3d10
	s_add_u32 s72, s18, s24
	s_addc_u32 s73, s14, s17
	s_mul_i32 s23, s11, s3
	s_and_b32 s24, s72, 0x3ffffff
	s_lshl_b64 s[74:75], s[6:7], 10
	s_lshr_b64 s[72:73], s[72:73], 26
	s_mul_hi_u32 s22, s11, s3
	s_add_u32 s6, s23, s47
	s_addc_u32 s14, s22, s46
	s_add_u32 s6, s6, s90
	s_mul_i32 s88, s9, s30
	s_addc_u32 s14, s14, s89
	s_mul_hi_u32 s87, s9, s30
	s_add_u32 s6, s6, s88
	s_addc_u32 s14, s14, s87
	s_add_u32 s0, s6, s0
	s_addc_u32 s1, s14, s1
	s_mul_i32 s86, s25, s35
	s_mul_hi_u32 s19, s2, s2
	s_mul_i32 s2, s2, s2
	s_and_b32 s6, s0, 0x3ffffff
	s_lshr_b64 s[0:1], s[0:1], 26
	s_mul_hi_u32 s85, s25, s35
	s_add_u32 s2, s86, s2
	s_addc_u32 s18, s85, s19
	s_add_u32 s2, s2, s74
	s_mul_i32 s17, s6, 0x3d10
	s_addc_u32 s18, s18, s75
	s_mul_hi_u32 s14, s6, 0x3d10
	s_add_u32 s2, s2, s17
	s_addc_u32 s14, s18, s14
	s_add_u32 s72, s2, s72
	s_addc_u32 s73, s14, s73
	s_lshl_b64 s[74:75], s[6:7], 10
	s_lshl_b32 s6, s16, 1
	s_and_b32 s6, s6, 0x7fffffe
	s_mul_hi_u32 s36, s11, s11
	s_mul_i32 s37, s11, s11
	s_mul_hi_u32 s80, s11, s35
	s_mul_i32 s82, s11, s35
	;; [unrolled: 2-line block ×3, first 2 shown]
	s_mul_i32 s56, s15, s3
	s_and_b32 s46, s72, 0x3ffffff
	s_and_b32 s2, s10, 0x3ffffff
	s_lshr_b64 s[16:17], s[72:73], 26
	s_mul_hi_u32 s49, s6, s11
	s_mul_i32 s11, s6, s11
	s_mul_hi_u32 s33, s15, s3
	s_mul_hi_u32 s50, s15, s6
	s_mul_i32 s58, s15, s6
	s_mul_hi_u32 s59, s9, s6
	s_mul_i32 s63, s9, s6
	s_add_u32 s6, s56, s11
	s_addc_u32 s11, s33, s49
	s_add_u32 s4, s6, s4
	s_addc_u32 s6, s11, vcc_hi
	s_add_u32 s0, s4, s0
	s_addc_u32 s1, s6, s1
	s_mul_i32 vcc_lo, s31, s25
	s_mul_i32 s14, s2, s35
	s_and_b32 s6, s0, 0x3ffffff
	s_lshr_b64 s[0:1], s[0:1], 26
	s_mul_hi_u32 s91, s31, s25
	s_mul_hi_u32 s10, s2, s35
	s_add_u32 s14, s14, vcc_lo
	s_addc_u32 s10, s10, s91
	s_add_u32 s14, s14, s74
	s_mul_i32 s11, s6, 0x3d10
	s_addc_u32 s10, s10, s75
	s_mul_hi_u32 s4, s6, 0x3d10
	s_add_u32 s11, s14, s11
	s_addc_u32 s4, s10, s4
	s_add_u32 s10, s11, s16
	s_addc_u32 s11, s4, s17
	s_lshl_b64 s[16:17], s[6:7], 10
	s_and_b32 s4, s12, 0x3ffffff
	s_lshr_b64 s[72:73], s[10:11], 26
	s_add_u32 s6, s58, s37
	s_mul_hi_u32 s27, s25, s25
	s_mul_i32 s29, s25, s25
	s_mul_hi_u32 s25, s15, s35
	s_mul_i32 s48, s15, s35
	;; [unrolled: 2-line block ×6, first 2 shown]
	s_addc_u32 s13, s50, s36
	s_add_u32 s3, s6, s3
	s_addc_u32 s6, s13, s57
	s_add_u32 s0, s3, s0
	s_addc_u32 s1, s6, s1
	s_mul_i32 s19, s2, s31
	s_and_b32 s6, s0, 0x3ffffff
	s_lshr_b64 s[0:1], s[0:1], 26
	s_mul_hi_u32 s18, s2, s31
	s_add_u32 s19, s19, s29
	s_addc_u32 s18, s18, s27
	s_add_u32 s12, s19, s12
	s_addc_u32 s11, s18, s11
	s_add_u32 s12, s12, s16
	s_mul_i32 s13, s6, 0x3d10
	s_addc_u32 s11, s11, s17
	s_mul_hi_u32 s3, s6, 0x3d10
	s_add_u32 s12, s12, s13
	s_addc_u32 s3, s11, s3
	s_add_u32 s12, s12, s72
	s_addc_u32 s13, s3, s73
	s_lshl_b32 s3, s26, 1
	s_and_b32 s3, s3, 0x7fffffe
	s_lshl_b64 s[16:17], s[6:7], 10
	s_lshr_b64 s[26:27], s[12:13], 26
	s_mul_i32 s11, s3, s15
	s_mul_hi_u32 s6, s3, s15
	s_add_u32 s11, s63, s11
	s_addc_u32 s6, s59, s6
	s_add_u32 s0, s11, s0
	s_addc_u32 s1, s6, s1
	s_mul_hi_u32 s14, s4, s31
	s_mul_i32 s31, s4, s31
	s_and_b32 s6, s0, 0x3ffffff
	s_lshr_b64 s[0:1], s[0:1], 26
	s_add_u32 s18, s31, s23
	s_addc_u32 s14, s14, s22
	s_add_u32 s18, s18, s21
	s_addc_u32 s14, s14, s64
	s_add_u32 s16, s18, s16
	s_mul_hi_u32 s40, s15, s15
	s_mul_i32 s41, s15, s15
	s_mul_i32 s15, s6, 0x3d10
	s_addc_u32 s14, s14, s17
	s_mul_hi_u32 s11, s6, 0x3d10
	s_add_u32 s15, s16, s15
	s_addc_u32 s11, s14, s11
	s_add_u32 s14, s15, s26
	s_addc_u32 s15, s11, s27
	s_mul_hi_u32 s13, s9, s3
	s_mul_i32 s3, s9, s3
	s_lshl_b64 s[16:17], s[6:7], 10
	s_lshr_b64 s[26:27], s[14:15], 26
	s_add_u32 s3, s3, s41
	s_addc_u32 s6, s13, s40
	s_add_u32 s0, s3, s0
	s_addc_u32 s1, s6, s1
	s_mul_hi_u32 s47, s2, s2
	s_mul_i32 s2, s2, s2
	s_and_b32 s6, s0, 0x3ffffff
	s_lshr_b64 s[0:1], s[0:1], 26
	s_add_u32 s2, s35, s2
	s_addc_u32 s13, s33, s47
	s_add_u32 s2, s2, s65
	s_addc_u32 s13, s13, s66
	;; [unrolled: 2-line block ×3, first 2 shown]
	s_add_u32 s2, s2, s16
	s_mul_i32 s11, s6, 0x3d10
	s_addc_u32 s13, s13, s17
	s_mul_hi_u32 s3, s6, 0x3d10
	s_add_u32 s2, s2, s11
	s_addc_u32 s3, s13, s3
	s_add_u32 s16, s2, s26
	s_addc_u32 s17, s3, s27
	s_lshl_b32 s2, s8, 1
	s_and_b32 s2, s2, 0x7fffffe
	s_mul_hi_u32 s49, s30, s4
	s_mul_i32 s56, s30, s4
	s_lshl_b64 s[26:27], s[6:7], 10
	s_lshr_b64 s[30:31], s[16:17], 26
	s_mul_hi_u32 s3, s2, s9
	s_mul_i32 s2, s2, s9
	s_add_u32 s0, s0, s2
	s_addc_u32 s1, s1, s3
	s_and_b32 s6, s0, 0x3ffffff
	s_lshr_b64 s[0:1], s[0:1], 26
	s_add_u32 s8, s43, s56
	s_mul_hi_u32 s44, s9, s9
	s_mul_i32 s45, s9, s9
	s_addc_u32 s9, s42, s49
	s_add_u32 s8, s8, s70
	s_addc_u32 s9, s9, s68
	s_add_u32 s8, s8, s82
	;; [unrolled: 2-line block ×3, first 2 shown]
	s_mul_i32 s3, s6, 0x3d10
	s_addc_u32 s9, s9, s27
	s_mul_hi_u32 s2, s6, 0x3d10
	s_add_u32 s3, s8, s3
	s_addc_u32 s2, s9, s2
	s_add_u32 s26, s3, s30
	s_addc_u32 s27, s2, s31
	s_lshl_b64 s[8:9], s[6:7], 10
	s_lshr_b64 s[30:31], s[26:27], 26
	s_add_u32 s0, s0, s45
	s_addc_u32 s1, s1, s44
	s_mul_hi_u32 s69, s4, s4
	s_mul_i32 s4, s4, s4
	s_and_b32 s6, s0, 0x3ffffff
	v_mov_b32_e32 v0, s0
	s_lshr_b64 s[36:37], s[0:1], 26
	v_alignbit_b32 v0, s1, v0, 26
	s_add_u32 s1, s55, s4
	s_addc_u32 s4, s54, s69
	s_add_u32 s1, s1, s39
	s_addc_u32 s4, s4, s38
	;; [unrolled: 2-line block ×4, first 2 shown]
	s_add_u32 s1, s1, s8
	s_mul_i32 s2, s6, 0x3d10
	s_addc_u32 s4, s4, s9
	s_mul_hi_u32 s0, s6, 0x3d10
	s_add_u32 s1, s1, s2
	s_addc_u32 s0, s4, s0
	s_add_u32 s8, s1, s30
	v_readfirstlane_b32 s3, v0
	s_addc_u32 s9, s0, s31
	s_mul_hi_u32 s11, s3, 0x3d10
	s_mulk_i32 s3, 0x3d10
	s_lshl_b64 s[0:1], s[6:7], 10
	s_lshr_b64 s[30:31], s[8:9], 26
	s_add_u32 s2, s3, s28
	s_addc_u32 s3, s11, 0
	s_add_u32 s0, s2, s0
	s_addc_u32 s1, s3, s1
	;; [unrolled: 2-line block ×3, first 2 shown]
	s_lshl_b64 s[0:1], s[36:37], 14
	s_lshr_b64 s[28:29], s[30:31], 22
	s_add_u32 s0, s28, s0
	s_addc_u32 s1, s29, s1
	s_mul_hi_u32 s2, s0, 0x3d1
	s_mul_i32 s4, s1, 0x3d1
	s_mul_i32 s3, s0, 0x3d1
	s_add_i32 s2, s2, s4
	s_add_u32 s28, s3, s53
	s_addc_u32 s29, s2, 0
	s_lshl_b64 s[0:1], s[0:1], 6
	s_lshr_b64 s[36:37], s[28:29], 26
	s_add_u32 s0, s0, s24
	s_addc_u32 s1, s1, 0
	s_add_u32 s24, s0, s36
	s_addc_u32 s25, s1, s37
	s_lshr_b64 s[0:1], s[24:25], 26
	s_add_i32 s34, s34, -1
	s_add_u32 s25, s0, s46
	s_cmp_lg_u32 s34, 0
	s_cbranch_scc1 .LBB0_17
; %bb.18:
	s_and_b32 s29, s10, 0x3ffffff
	s_and_b32 s31, s12, 0x3ffffff
	;; [unrolled: 1-line block ×4, first 2 shown]
	s_mul_i32 s9, s29, s20
	s_mul_i32 s11, s31, s61
	s_and_b32 s34, s14, 0x3ffffff
	s_and_b32 s35, s16, 0x3ffffff
	;; [unrolled: 1-line block ×5, first 2 shown]
	s_mul_hi_u32 s7, s29, s20
	s_mul_hi_u32 s10, s31, s61
	s_add_u32 s9, s11, s9
	s_mul_i32 s13, s34, s92
	s_addc_u32 s7, s10, s7
	s_mul_hi_u32 s12, s34, s92
	s_add_u32 s9, s9, s13
	s_mul_i32 s15, s35, s93
	s_addc_u32 s7, s7, s12
	s_mul_hi_u32 s14, s35, s93
	v_readlane_b32 s48, v15, 57
	s_add_u32 s9, s9, s15
	s_mul_i32 s17, s26, s48
	s_addc_u32 s7, s7, s14
	s_mul_hi_u32 s16, s26, s48
	s_add_u32 s9, s9, s17
	s_mul_i32 s18, s36, s94
	s_addc_u32 s7, s7, s16
	s_mul_hi_u32 s8, s36, s94
	;; [unrolled: 4-line block ×6, first 2 shown]
	s_add_u32 s0, s1, s6
	s_addc_u32 s1, s2, s4
	s_and_b32 s24, s0, 0x3ffffff
	s_lshr_b64 s[0:1], s[0:1], 26
	s_mul_i32 s11, s29, s79
	s_mul_i32 s13, s31, s20
	s_mul_hi_u32 s10, s29, s79
	s_mul_hi_u32 s12, s31, s20
	s_add_u32 s11, s13, s11
	s_mul_i32 s15, s34, s61
	s_addc_u32 s10, s12, s10
	s_mul_hi_u32 s14, s34, s61
	s_add_u32 s11, s11, s15
	s_mul_i32 s17, s35, s92
	s_addc_u32 s10, s10, s14
	;; [unrolled: 4-line block ×7, first 2 shown]
	s_mul_hi_u32 s8, s25, s60
	s_add_u32 s6, s6, s9
	s_addc_u32 s4, s4, s8
	s_add_u32 s0, s6, s0
	s_addc_u32 s1, s4, s1
	s_and_b32 s6, s0, 0x3ffffff
	s_mul_i32 s3, s27, s95
	s_lshr_b64 s[0:1], s[0:1], 26
	s_mul_i32 s8, s6, 0x3d10
	s_mul_hi_u32 s2, s27, s95
	s_mul_hi_u32 s4, s6, 0x3d10
	s_add_u32 s8, s8, s3
	s_mov_b32 s7, 0
	s_addc_u32 s9, s4, s2
	s_and_b32 s37, s8, 0x3ffffff
	s_lshr_b64 s[8:9], s[8:9], 26
	s_lshl_b64 s[10:11], s[6:7], 10
	s_mul_i32 s15, s29, s60
	s_mul_i32 s17, s31, s79
	s_mul_hi_u32 s14, s29, s60
	s_mul_hi_u32 s16, s31, s79
	s_add_u32 s15, s17, s15
	s_mul_i32 s19, s34, s20
	s_addc_u32 s14, s16, s14
	s_mul_hi_u32 s18, s34, s20
	s_add_u32 s15, s15, s19
	s_mul_i32 s22, s35, s61
	s_addc_u32 s14, s14, s18
	;; [unrolled: 4-line block ×6, first 2 shown]
	s_mul_hi_u32 s6, s25, s5
	s_add_u32 s13, s15, s13
	s_addc_u32 s6, s14, s6
	s_add_u32 s0, s13, s0
	s_addc_u32 s1, s6, s1
	s_mul_i32 s3, s27, s94
	s_mul_i32 s12, s28, s95
	s_and_b32 s6, s0, 0x3ffffff
	s_lshr_b64 s[0:1], s[0:1], 26
	s_mul_hi_u32 s2, s27, s94
	s_mul_hi_u32 s4, s28, s95
	s_add_u32 s3, s12, s3
	s_addc_u32 s2, s4, s2
	s_add_u32 s3, s3, s10
	s_addc_u32 s2, s2, s11
	s_add_u32 s3, s3, s8
	s_mul_i32 s14, s6, 0x3d10
	s_addc_u32 s2, s2, s9
	s_mul_hi_u32 s13, s6, 0x3d10
	s_add_u32 s8, s3, s14
	s_addc_u32 s9, s2, s13
	s_and_b32 s38, s8, 0x3ffffff
	s_lshr_b64 s[8:9], s[8:9], 26
	s_lshl_b64 s[10:11], s[6:7], 10
	s_mul_i32 s15, s29, s5
	s_mul_i32 s17, s31, s60
	s_mul_hi_u32 s6, s29, s5
	s_mul_hi_u32 s16, s31, s60
	s_add_u32 s15, s17, s15
	s_mul_i32 s19, s34, s79
	s_addc_u32 s6, s16, s6
	s_mul_hi_u32 s18, s34, s79
	s_add_u32 s15, s15, s19
	s_mul_i32 s22, s35, s20
	s_addc_u32 s6, s6, s18
	;; [unrolled: 4-line block ×5, first 2 shown]
	s_mul_hi_u32 s41, s30, s93
	s_add_u32 s15, s15, s42
	s_addc_u32 s6, s6, s41
	s_add_u32 s0, s15, s0
	s_addc_u32 s1, s6, s1
	s_mul_i32 s3, s27, s48
	s_mul_i32 s12, s28, s94
	s_and_b32 s6, s0, 0x3ffffff
	s_lshr_b64 s[0:1], s[0:1], 26
	s_mul_hi_u32 s2, s27, s48
	s_mul_hi_u32 s4, s28, s94
	s_add_u32 s3, s12, s3
	s_mul_i32 s14, s25, s95
	s_addc_u32 s2, s4, s2
	s_mul_hi_u32 s13, s25, s95
	s_add_u32 s3, s3, s14
	s_addc_u32 s2, s2, s13
	s_add_u32 s3, s3, s10
	s_mul_i32 s16, s6, 0x3d10
	s_addc_u32 s2, s2, s11
	s_mul_hi_u32 s15, s6, 0x3d10
	s_add_u32 s3, s3, s16
	s_addc_u32 s2, s2, s15
	s_add_u32 s8, s3, s8
	s_addc_u32 s9, s2, s9
	s_and_b32 s39, s8, 0x3ffffff
	s_lshr_b64 s[8:9], s[8:9], 26
	s_lshl_b64 s[10:11], s[6:7], 10
	s_mul_i32 s17, s31, s5
	s_mul_i32 s19, s34, s60
	s_mul_hi_u32 s6, s31, s5
	s_mul_hi_u32 s18, s34, s60
	s_add_u32 s17, s19, s17
	s_mul_i32 s22, s35, s79
	s_addc_u32 s6, s18, s6
	s_mul_hi_u32 s21, s35, s79
	s_add_u32 s17, s17, s22
	s_mul_i32 s33, s26, s20
	s_addc_u32 s6, s6, s21
	;; [unrolled: 4-line block ×4, first 2 shown]
	s_mul_hi_u32 s42, s30, s92
	s_add_u32 s17, s17, s43
	s_addc_u32 s6, s6, s42
	s_add_u32 s0, s17, s0
	s_addc_u32 s1, s6, s1
	s_mul_i32 s3, s27, s93
	s_mul_i32 s16, s29, s95
	s_and_b32 s6, s0, 0x3ffffff
	s_lshr_b64 s[0:1], s[0:1], 26
	s_mul_hi_u32 s2, s27, s93
	s_mul_hi_u32 s15, s29, s95
	s_add_u32 s3, s3, s16
	s_mul_i32 s12, s28, s48
	s_addc_u32 s2, s2, s15
	s_mul_hi_u32 s4, s28, s48
	s_add_u32 s3, s3, s12
	s_mul_i32 s14, s25, s94
	s_addc_u32 s2, s2, s4
	s_mul_hi_u32 s13, s25, s94
	s_add_u32 s3, s3, s14
	s_addc_u32 s2, s2, s13
	s_add_u32 s3, s3, s10
	s_mul_i32 s18, s6, 0x3d10
	s_addc_u32 s2, s2, s11
	s_mul_hi_u32 s17, s6, 0x3d10
	s_add_u32 s3, s3, s18
	s_addc_u32 s2, s2, s17
	s_add_u32 s8, s3, s8
	s_addc_u32 s9, s2, s9
	s_lshr_b64 s[10:11], s[8:9], 26
	s_lshl_b64 s[12:13], s[6:7], 10
	s_mul_i32 s21, s34, s5
	s_mul_i32 s23, s35, s60
	s_mul_hi_u32 s6, s34, s5
	s_mul_hi_u32 s22, s35, s60
	s_add_u32 s21, s23, s21
	s_mul_i32 s40, s26, s79
	s_addc_u32 s6, s22, s6
	s_mul_hi_u32 s33, s26, s79
	s_add_u32 s21, s21, s40
	s_mul_i32 s42, s36, s20
	s_addc_u32 s6, s6, s33
	;; [unrolled: 4-line block ×3, first 2 shown]
	s_mul_hi_u32 s43, s30, s61
	s_add_u32 s21, s21, s44
	s_addc_u32 s6, s6, s43
	s_add_u32 s0, s21, s0
	s_addc_u32 s1, s6, s1
	s_mul_i32 s17, s29, s94
	s_mul_i32 s19, s31, s95
	s_and_b32 s6, s0, 0x3ffffff
	s_lshr_b64 s[0:1], s[0:1], 26
	s_mul_hi_u32 s16, s29, s94
	s_mul_hi_u32 s18, s31, s95
	s_add_u32 s17, s19, s17
	s_mul_i32 s3, s27, s92
	s_addc_u32 s16, s18, s16
	s_mul_hi_u32 s2, s27, s92
	s_add_u32 s3, s17, s3
	s_mul_i32 s9, s28, s93
	s_addc_u32 s2, s16, s2
	;; [unrolled: 4-line block ×3, first 2 shown]
	s_mul_hi_u32 s14, s25, s48
	s_add_u32 s3, s3, s15
	s_addc_u32 s2, s2, s14
	s_add_u32 s3, s3, s12
	s_mul_i32 s22, s6, 0x3d10
	s_addc_u32 s2, s2, s13
	s_mul_hi_u32 s21, s6, 0x3d10
	s_add_u32 s3, s3, s22
	s_addc_u32 s2, s2, s21
	s_add_u32 s10, s3, s10
	s_addc_u32 s11, s2, s11
	s_lshr_b64 s[12:13], s[10:11], 26
	s_lshl_b64 s[14:15], s[6:7], 10
	s_mul_i32 s33, s35, s5
	s_mul_i32 s41, s26, s60
	s_mul_hi_u32 s6, s35, s5
	s_mul_hi_u32 s40, s26, s60
	s_add_u32 s33, s41, s33
	s_mul_i32 s43, s36, s79
	s_addc_u32 s6, s40, s6
	s_mul_hi_u32 s42, s36, s79
	s_add_u32 s33, s33, s43
	s_mul_i32 s45, s30, s20
	s_addc_u32 s6, s6, s42
	s_mul_hi_u32 s44, s30, s20
	s_add_u32 s33, s33, s45
	s_addc_u32 s6, s6, s44
	s_add_u32 s0, s33, s0
	s_addc_u32 s1, s6, s1
	s_mul_i32 s18, s29, s48
	s_mul_i32 s21, s31, s94
	s_and_b32 s6, s0, 0x3ffffff
	s_lshr_b64 s[0:1], s[0:1], 26
	s_mul_hi_u32 s17, s29, s48
	s_mul_hi_u32 s19, s31, s94
	s_add_u32 s18, s21, s18
	s_mul_i32 s23, s34, s95
	s_addc_u32 s17, s19, s17
	s_mul_hi_u32 s22, s34, s95
	s_add_u32 s18, s18, s23
	s_mul_i32 s3, s27, s61
	s_addc_u32 s17, s17, s22
	;; [unrolled: 4-line block ×4, first 2 shown]
	s_mul_hi_u32 s11, s25, s93
	s_add_u32 s3, s3, s16
	s_addc_u32 s2, s2, s11
	s_add_u32 s3, s3, s14
	s_mul_i32 s40, s6, 0x3d10
	s_addc_u32 s2, s2, s15
	s_mul_hi_u32 s33, s6, 0x3d10
	s_add_u32 s3, s3, s40
	s_addc_u32 s2, s2, s33
	s_add_u32 s12, s3, s12
	s_addc_u32 s13, s2, s13
	s_lshr_b64 s[14:15], s[12:13], 26
	s_lshl_b64 s[16:17], s[6:7], 10
	s_mul_i32 s42, s26, s5
	s_mul_i32 s44, s36, s60
	s_mul_hi_u32 s6, s26, s5
	s_mul_hi_u32 s43, s36, s60
	s_add_u32 s42, s44, s42
	s_mul_i32 s46, s30, s79
	s_addc_u32 s6, s43, s6
	s_mul_hi_u32 s45, s30, s79
	s_add_u32 s42, s42, s46
	s_addc_u32 s6, s6, s45
	s_add_u32 s0, s42, s0
	s_addc_u32 s1, s6, s1
	s_mul_i32 s19, s29, s93
	s_mul_i32 s22, s31, s48
	s_and_b32 s6, s0, 0x3ffffff
	s_lshr_b64 s[0:1], s[0:1], 26
	s_mul_hi_u32 s18, s29, s93
	s_mul_hi_u32 s21, s31, s48
	s_add_u32 s19, s22, s19
	s_mul_i32 s33, s34, s94
	s_addc_u32 s18, s21, s18
	s_mul_hi_u32 s23, s34, s94
	s_add_u32 s19, s19, s33
	s_mul_i32 s41, s35, s95
	s_addc_u32 s18, s18, s23
	;; [unrolled: 4-line block ×5, first 2 shown]
	s_mul_hi_u32 s11, s25, s92
	s_add_u32 s3, s3, s13
	s_addc_u32 s2, s2, s11
	s_add_u32 s3, s3, s16
	s_mul_i32 s43, s6, 0x3d10
	s_addc_u32 s2, s2, s17
	s_mul_hi_u32 s42, s6, 0x3d10
	s_add_u32 s3, s3, s43
	s_addc_u32 s2, s2, s42
	s_add_u32 s14, s3, s14
	s_addc_u32 s15, s2, s15
	s_lshr_b64 s[16:17], s[14:15], 26
	s_lshl_b64 s[40:41], s[6:7], 10
	s_mul_i32 s45, s36, s5
	s_mul_i32 s47, s30, s60
	s_mul_hi_u32 s6, s36, s5
	s_mul_hi_u32 s46, s30, s60
	s_add_u32 s45, s47, s45
	s_addc_u32 s6, s46, s6
	s_add_u32 s0, s45, s0
	s_addc_u32 s1, s6, s1
	s_mul_i32 s18, s29, s92
	s_mul_i32 s21, s31, s93
	s_and_b32 s6, s0, 0x3ffffff
	s_lshr_b64 s[0:1], s[0:1], 26
	s_mul_hi_u32 s15, s29, s92
	s_mul_hi_u32 s19, s31, s93
	s_add_u32 s18, s21, s18
	s_mul_i32 s23, s34, s48
	s_addc_u32 s15, s19, s15
	s_mul_hi_u32 s22, s34, s48
	s_add_u32 s18, s18, s23
	s_mul_i32 s42, s35, s94
	s_addc_u32 s15, s15, s22
	;; [unrolled: 4-line block ×6, first 2 shown]
	s_mul_hi_u32 s11, s25, s61
	s_add_u32 s3, s3, s13
	s_addc_u32 s2, s2, s11
	s_add_u32 s3, s3, s40
	s_mul_i32 s46, s6, 0x3d10
	s_addc_u32 s2, s2, s41
	s_mul_hi_u32 s45, s6, 0x3d10
	s_add_u32 s3, s3, s46
	s_addc_u32 s2, s2, s45
	s_add_u32 s16, s3, s16
	s_addc_u32 s17, s2, s17
	s_lshr_b64 s[40:41], s[16:17], 26
	s_lshl_b64 s[42:43], s[6:7], 10
	s_mul_hi_u32 s6, s30, s5
	s_mul_i32 s30, s30, s5
	s_add_u32 s0, s0, s30
	s_addc_u32 s1, s1, s6
	s_mul_hi_u32 s4, s25, s20
	s_mul_i32 s9, s25, s20
	s_mul_hi_u32 s11, s29, s61
	s_mul_i32 s29, s29, s61
	;; [unrolled: 2-line block ×3, first 2 shown]
	s_and_b32 s6, s0, 0x3ffffff
	s_lshr_b64 s[20:21], s[0:1], 26
	s_add_u32 s23, s31, s29
	s_mul_hi_u32 s15, s34, s93
	s_mul_i32 s34, s34, s93
	s_addc_u32 s11, s13, s11
	s_add_u32 s13, s23, s34
	s_mul_hi_u32 s17, s35, s48
	s_mul_i32 s35, s35, s48
	s_addc_u32 s11, s11, s15
	s_add_u32 s13, s13, s35
	s_mul_hi_u32 s18, s26, s94
	s_mul_i32 s26, s26, s94
	s_addc_u32 s11, s11, s17
	s_add_u32 s13, s13, s26
	s_mul_hi_u32 s19, s36, s95
	s_mul_i32 s36, s36, s95
	s_addc_u32 s11, s11, s18
	s_add_u32 s13, s13, s36
	s_mul_hi_u32 s2, s27, s60
	s_mul_i32 s27, s27, s60
	s_addc_u32 s11, s11, s19
	s_add_u32 s13, s13, s27
	s_mul_hi_u32 s3, s28, s79
	s_mul_i32 s28, s28, s79
	s_addc_u32 s2, s11, s2
	s_add_u32 s11, s13, s28
	s_addc_u32 s2, s2, s3
	s_add_u32 s3, s11, s9
	s_addc_u32 s2, s2, s4
	s_add_u32 s3, s3, s42
	s_mul_i32 s22, s6, 0x3d10
	s_addc_u32 s2, s2, s43
	s_mul_hi_u32 s5, s6, 0x3d10
	s_add_u32 s3, s3, s22
	s_addc_u32 s2, s2, s5
	v_mov_b32_e32 v0, s0
	s_add_u32 s4, s3, s40
	v_alignbit_b32 v0, s1, v0, 26
	s_addc_u32 s5, s2, s41
	v_readfirstlane_b32 s0, v0
	s_lshr_b64 s[26:27], s[4:5], 26
	s_lshl_b64 s[28:29], s[6:7], 10
	s_mul_hi_u32 s1, s0, 0x3d10
	s_mulk_i32 s0, 0x3d10
	s_add_u32 s0, s0, s24
	s_addc_u32 s1, s1, 0
	s_add_u32 s0, s0, s28
	s_addc_u32 s1, s1, s29
	;; [unrolled: 2-line block ×3, first 2 shown]
	s_lshr_b64 s[0:1], s[28:29], 22
	s_lshl_b64 s[20:21], s[20:21], 14
	s_add_u32 s0, s0, s20
	s_addc_u32 s1, s1, s21
	s_mul_i32 s2, s1, 0x3d1
	s_mul_hi_u32 s3, s0, 0x3d1
	s_add_i32 s3, s3, s2
	s_mul_i32 s2, s0, 0x3d1
	s_add_u32 s26, s2, s37
	s_addc_u32 s27, s3, 0
	s_lshr_b64 s[20:21], s[26:27], 26
	s_lshl_b64 s[0:1], s[0:1], 6
	s_add_u32 s0, s0, s38
	s_addc_u32 s1, s1, 0
	s_add_u32 s24, s0, s20
	s_addc_u32 s25, s1, s21
	s_lshr_b64 s[0:1], s[24:25], 26
	s_add_u32 s17, s0, s39
	s_mov_b32 s20, 3
	v_readlane_b32 s49, v15, 58
.LBB0_19:                               ; =>This Inner Loop Header: Depth=1
	s_and_b32 s5, s28, 0x3fffff
	s_lshl_b32 s21, s26, 1
	s_lshl_b32 s28, s24, 1
	;; [unrolled: 1-line block ×4, first 2 shown]
	s_and_b32 s15, s14, 0x3ffffff
	s_and_b32 s6, s12, 0x3ffffff
	;; [unrolled: 1-line block ×7, first 2 shown]
	s_lshl_b32 s11, s17, 1
	s_and_b32 s9, s16, 0x3ffffff
	s_mul_i32 s19, s15, s28
	s_mul_i32 s23, s21, s6
	s_mul_hi_u32 s18, s15, s28
	s_mul_hi_u32 s22, s21, s6
	s_add_u32 s19, s19, s23
	s_mul_i32 s70, s9, s11
	s_addc_u32 s18, s18, s22
	s_mul_hi_u32 s68, s9, s11
	s_mul_hi_u32 s60, s6, s6
	s_mul_i32 s61, s6, s6
	s_mul_hi_u32 s39, s6, s11
	s_mul_i32 s40, s6, s11
	;; [unrolled: 2-line block ×9, first 2 shown]
	s_add_u32 s6, s19, s70
	s_mul_i32 s3, s13, s29
	s_addc_u32 s18, s18, s68
	s_mul_hi_u32 s2, s13, s29
	s_add_u32 s3, s6, s3
	s_mul_i32 s0, s5, s30
	s_addc_u32 s2, s18, s2
	s_mul_hi_u32 s1, s5, s30
	s_add_u32 s0, s3, s0
	s_addc_u32 s1, s2, s1
	s_and_b32 s2, s26, 0x3ffffff
	s_and_b32 s26, s0, 0x3fffffe
	s_lshr_b64 s[0:1], s[0:1], 26
	s_add_u32 s6, s71, s61
	s_mul_i32 s58, s9, s28
	s_addc_u32 s18, s59, s60
	s_mul_hi_u32 s57, s9, s28
	s_add_u32 s6, s6, s58
	s_mul_i32 s54, s13, s11
	s_addc_u32 s18, s18, s57
	s_mul_hi_u32 s51, s13, s11
	;; [unrolled: 4-line block ×3, first 2 shown]
	s_add_u32 s6, s6, s56
	s_addc_u32 s18, s18, s33
	s_add_u32 s0, s6, s0
	s_addc_u32 s1, s18, s1
	s_and_b32 s6, s0, 0x3ffffff
	s_mul_hi_u32 s3, s2, s2
	s_mul_i32 s2, s2, s2
	s_lshr_b64 s[0:1], s[0:1], 26
	s_mul_i32 s19, s6, 0x3d10
	s_mul_hi_u32 s18, s6, 0x3d10
	s_add_u32 s60, s19, s2
	s_addc_u32 s61, s18, s3
	s_lshl_b32 s3, s12, 1
	s_and_b32 s3, s3, 0x7fffffe
	s_mul_hi_u32 s43, s15, s15
	s_mul_i32 s44, s15, s15
	s_mul_hi_u32 s35, s15, s11
	s_mul_i32 s36, s15, s11
	;; [unrolled: 2-line block ×4, first 2 shown]
	s_and_b32 s51, s60, 0x3fffffd
	s_lshl_b64 s[70:71], s[6:7], 10
	s_and_b32 s2, s24, 0x3ffffff
	s_lshr_b64 s[60:61], s[60:61], 26
	s_mul_hi_u32 s6, s3, s15
	s_mul_i32 s15, s3, s15
	s_add_u32 s15, s75, s15
	s_mul_i32 s73, s13, s28
	s_addc_u32 s6, s74, s6
	s_mul_hi_u32 s72, s13, s28
	s_add_u32 s15, s15, s73
	s_mul_i32 s48, s5, s11
	s_addc_u32 s6, s6, s72
	s_mul_hi_u32 s47, s5, s11
	s_add_u32 s15, s15, s48
	s_addc_u32 s6, s6, s47
	s_add_u32 s0, s15, s0
	s_addc_u32 s1, s6, s1
	s_mul_i32 s18, s30, s2
	s_and_b32 s6, s0, 0x3ffffff
	s_lshr_b64 s[0:1], s[0:1], 26
	s_mul_hi_u32 s12, s30, s2
	s_add_u32 s18, s70, s18
	s_addc_u32 s12, s71, s12
	s_add_u32 s18, s18, s60
	s_mul_i32 s24, s6, 0x3d10
	s_addc_u32 s12, s12, s61
	s_mul_hi_u32 s15, s6, 0x3d10
	s_add_u32 s60, s18, s24
	s_addc_u32 s61, s12, s15
	s_mul_i32 s23, s9, s3
	s_and_b32 s24, s60, 0x3ffffff
	s_lshl_b64 s[70:71], s[6:7], 10
	s_lshr_b64 s[60:61], s[60:61], 26
	s_mul_hi_u32 s22, s9, s3
	s_add_u32 s6, s23, s44
	s_addc_u32 s12, s22, s43
	s_add_u32 s6, s6, s81
	s_mul_i32 s79, s5, s28
	s_addc_u32 s12, s12, s80
	s_mul_hi_u32 s78, s5, s28
	s_add_u32 s6, s6, s79
	s_addc_u32 s12, s12, s78
	s_add_u32 s0, s6, s0
	s_addc_u32 s1, s12, s1
	s_mul_i32 s77, s17, s30
	s_mul_hi_u32 s19, s2, s2
	s_mul_i32 s2, s2, s2
	s_and_b32 s6, s0, 0x3ffffff
	s_lshr_b64 s[0:1], s[0:1], 26
	s_mul_hi_u32 s76, s17, s30
	s_add_u32 s2, s77, s2
	s_addc_u32 s18, s76, s19
	s_add_u32 s2, s2, s70
	s_mul_i32 s15, s6, 0x3d10
	s_addc_u32 s18, s18, s71
	s_mul_hi_u32 s12, s6, 0x3d10
	s_add_u32 s2, s2, s15
	s_addc_u32 s12, s18, s12
	s_add_u32 s60, s2, s60
	s_addc_u32 s61, s12, s61
	s_lshl_b64 s[70:71], s[6:7], 10
	s_lshl_b32 s6, s14, 1
	s_and_b32 s6, s6, 0x7fffffe
	s_mul_hi_u32 s25, s17, s17
	s_mul_i32 s27, s17, s17
	s_mul_hi_u32 s31, s9, s9
	s_mul_i32 s34, s9, s9
	s_mul_hi_u32 s82, s29, s17
	s_mul_i32 s83, s29, s17
	s_mul_hi_u32 s17, s9, s30
	s_mul_i32 s55, s9, s30
	s_mul_hi_u32 s49, s9, s29
	s_mul_i32 s50, s9, s29
	s_mul_i32 s54, s13, s3
	s_and_b32 s43, s60, 0x3ffffff
	s_and_b32 s2, s8, 0x3ffffff
	s_lshr_b64 s[14:15], s[60:61], 26
	s_mul_hi_u32 s47, s6, s9
	s_mul_i32 s9, s6, s9
	s_mul_hi_u32 s33, s13, s3
	s_mul_hi_u32 s48, s13, s6
	s_mul_i32 s57, s13, s6
	s_mul_hi_u32 s58, s5, s6
	s_mul_i32 s59, s5, s6
	s_add_u32 s6, s54, s9
	s_addc_u32 s9, s33, s47
	s_add_u32 s6, s6, s85
	s_addc_u32 s9, s9, s84
	;; [unrolled: 2-line block ×3, first 2 shown]
	s_mul_i32 s12, s2, s30
	s_and_b32 s6, s0, 0x3ffffff
	s_lshr_b64 s[0:1], s[0:1], 26
	s_mul_hi_u32 s8, s2, s30
	s_add_u32 s12, s12, s83
	s_addc_u32 s8, s8, s82
	s_add_u32 s12, s12, s70
	s_mul_i32 s33, s6, 0x3d10
	s_addc_u32 s8, s8, s71
	s_mul_hi_u32 s9, s6, 0x3d10
	s_add_u32 s12, s12, s33
	s_addc_u32 s9, s8, s9
	s_add_u32 s8, s12, s14
	s_addc_u32 s9, s9, s15
	s_lshl_b64 s[14:15], s[6:7], 10
	s_and_b32 s6, s10, 0x3ffffff
	s_lshr_b64 s[60:61], s[8:9], 26
	s_mul_hi_u32 s45, s13, s30
	s_mul_i32 s46, s13, s30
	s_mul_hi_u32 s9, s6, s30
	s_mul_i32 s10, s6, s30
	s_mul_hi_u32 s12, s6, s29
	s_mul_i32 s30, s6, s29
	s_mul_hi_u32 s33, s6, s11
	s_mul_i32 s47, s6, s11
	s_mul_hi_u32 s54, s28, s6
	s_mul_i32 s68, s28, s6
	s_mul_hi_u32 s70, s6, s6
	s_mul_i32 s71, s6, s6
	s_add_u32 s6, s57, s34
	s_mul_hi_u32 s56, s5, s3
	s_mul_i32 s3, s5, s3
	s_mul_hi_u32 s22, s11, s2
	s_mul_i32 s23, s11, s2
	s_addc_u32 s11, s48, s31
	s_add_u32 s3, s6, s3
	s_addc_u32 s6, s11, s56
	s_add_u32 s0, s3, s0
	s_addc_u32 s1, s6, s1
	s_mul_i32 s19, s2, s29
	s_and_b32 s6, s0, 0x3ffffff
	s_lshr_b64 s[0:1], s[0:1], 26
	s_mul_hi_u32 s18, s2, s29
	s_add_u32 s19, s19, s27
	s_addc_u32 s18, s18, s25
	s_add_u32 s10, s19, s10
	s_addc_u32 s9, s18, s9
	s_add_u32 s10, s10, s14
	s_mul_i32 s11, s6, 0x3d10
	s_addc_u32 s9, s9, s15
	s_mul_hi_u32 s3, s6, 0x3d10
	s_add_u32 s10, s10, s11
	s_addc_u32 s3, s9, s3
	s_add_u32 s10, s10, s60
	s_addc_u32 s11, s3, s61
	s_lshl_b32 s3, s16, 1
	s_and_b32 s3, s3, 0x7fffffe
	s_lshl_b64 s[14:15], s[6:7], 10
	s_lshr_b64 s[28:29], s[10:11], 26
	s_mul_i32 s9, s3, s13
	s_mul_hi_u32 s6, s3, s13
	s_add_u32 s9, s59, s9
	s_addc_u32 s6, s58, s6
	s_add_u32 s0, s9, s0
	s_addc_u32 s1, s6, s1
	s_and_b32 s6, s0, 0x3ffffff
	s_lshr_b64 s[0:1], s[0:1], 26
	s_add_u32 s16, s30, s23
	s_addc_u32 s12, s12, s22
	s_add_u32 s16, s16, s21
	s_addc_u32 s12, s12, s64
	s_add_u32 s14, s16, s14
	s_mul_hi_u32 s37, s13, s13
	s_mul_i32 s38, s13, s13
	s_mul_i32 s13, s6, 0x3d10
	s_addc_u32 s12, s12, s15
	s_mul_hi_u32 s9, s6, 0x3d10
	s_add_u32 s13, s14, s13
	s_addc_u32 s9, s12, s9
	s_add_u32 s12, s13, s28
	s_addc_u32 s13, s9, s29
	s_mul_hi_u32 s11, s5, s3
	s_mul_i32 s3, s5, s3
	s_lshl_b64 s[14:15], s[6:7], 10
	s_lshr_b64 s[28:29], s[12:13], 26
	s_add_u32 s3, s3, s38
	s_addc_u32 s6, s11, s37
	s_add_u32 s0, s3, s0
	s_addc_u32 s1, s6, s1
	s_mul_hi_u32 s44, s2, s2
	s_mul_i32 s2, s2, s2
	s_and_b32 s6, s0, 0x3ffffff
	s_lshr_b64 s[0:1], s[0:1], 26
	s_add_u32 s2, s47, s2
	s_addc_u32 s11, s33, s44
	s_add_u32 s2, s2, s65
	s_addc_u32 s11, s11, s66
	;; [unrolled: 2-line block ×3, first 2 shown]
	s_add_u32 s2, s2, s14
	s_mul_i32 s9, s6, 0x3d10
	s_addc_u32 s11, s11, s15
	s_mul_hi_u32 s3, s6, 0x3d10
	s_add_u32 s2, s2, s9
	s_addc_u32 s3, s11, s3
	s_add_u32 s14, s2, s28
	s_addc_u32 s15, s3, s29
	s_lshl_b32 s2, s4, 1
	s_and_b32 s2, s2, 0x7fffffe
	s_lshl_b64 s[28:29], s[6:7], 10
	s_lshr_b64 s[30:31], s[14:15], 26
	s_mul_hi_u32 s3, s2, s5
	s_mul_i32 s2, s2, s5
	s_add_u32 s0, s0, s2
	s_addc_u32 s1, s1, s3
	s_and_b32 s6, s0, 0x3ffffff
	s_lshr_b64 s[0:1], s[0:1], 26
	s_add_u32 s4, s40, s68
	s_mul_hi_u32 s41, s5, s5
	s_mul_i32 s42, s5, s5
	s_addc_u32 s5, s39, s54
	s_add_u32 s4, s4, s69
	s_addc_u32 s5, s5, s63
	s_add_u32 s4, s4, s55
	;; [unrolled: 2-line block ×3, first 2 shown]
	s_mul_i32 s3, s6, 0x3d10
	s_addc_u32 s5, s5, s29
	s_mul_hi_u32 s2, s6, 0x3d10
	s_add_u32 s3, s4, s3
	s_addc_u32 s2, s5, s2
	s_add_u32 s16, s3, s30
	s_addc_u32 s17, s2, s31
	s_lshl_b64 s[4:5], s[6:7], 10
	s_lshr_b64 s[28:29], s[16:17], 26
	s_add_u32 s0, s0, s42
	s_addc_u32 s1, s1, s41
	s_and_b32 s6, s0, 0x3ffffff
	v_mov_b32_e32 v0, s0
	s_lshr_b64 s[30:31], s[0:1], 26
	v_alignbit_b32 v0, s1, v0, 26
	s_add_u32 s1, s53, s71
	s_addc_u32 s9, s52, s70
	s_add_u32 s1, s1, s36
	s_addc_u32 s9, s9, s35
	;; [unrolled: 2-line block ×4, first 2 shown]
	s_add_u32 s1, s1, s4
	s_mul_i32 s2, s6, 0x3d10
	s_addc_u32 s4, s9, s5
	s_mul_hi_u32 s0, s6, 0x3d10
	s_add_u32 s1, s1, s2
	s_addc_u32 s0, s4, s0
	s_add_u32 s4, s1, s28
	v_readfirstlane_b32 s3, v0
	s_addc_u32 s5, s0, s29
	s_mul_hi_u32 s11, s3, 0x3d10
	s_mulk_i32 s3, 0x3d10
	s_lshl_b64 s[0:1], s[6:7], 10
	s_lshr_b64 s[28:29], s[4:5], 26
	s_add_u32 s2, s3, s26
	s_addc_u32 s3, s11, 0
	s_add_u32 s0, s2, s0
	s_addc_u32 s1, s3, s1
	s_add_u32 s28, s0, s28
	s_addc_u32 s29, s1, s29
	s_lshl_b64 s[0:1], s[30:31], 14
	s_lshr_b64 s[26:27], s[28:29], 22
	s_add_u32 s0, s26, s0
	s_addc_u32 s1, s27, s1
	s_mul_hi_u32 s2, s0, 0x3d1
	s_mul_i32 s5, s1, 0x3d1
	s_mul_i32 s3, s0, 0x3d1
	s_add_i32 s2, s2, s5
	s_add_u32 s26, s3, s51
	s_addc_u32 s27, s2, 0
	s_lshl_b64 s[0:1], s[0:1], 6
	s_lshr_b64 s[30:31], s[26:27], 26
	s_add_u32 s0, s0, s24
	s_addc_u32 s1, s1, 0
	s_add_u32 s24, s0, s30
	s_addc_u32 s25, s1, s31
	s_lshr_b64 s[0:1], s[24:25], 26
	s_add_i32 s20, s20, -1
	s_add_u32 s17, s0, s43
	s_cmp_lg_u32 s20, 0
	s_cbranch_scc1 .LBB0_19
; %bb.20:
	s_and_b32 s20, s26, 0x3ffffff
	s_and_b32 s25, s8, 0x3ffffff
	v_readlane_b32 s51, v15, 27
	s_and_b32 s26, s10, 0x3ffffff
	v_readlane_b32 s52, v15, 28
	s_and_b32 s24, s24, 0x3ffffff
	s_mul_i32 s8, s25, s51
	s_mul_i32 s10, s26, s52
	s_and_b32 s27, s12, 0x3ffffff
	s_and_b32 s29, s14, 0x3ffffff
	;; [unrolled: 1-line block ×5, first 2 shown]
	s_mul_hi_u32 s7, s25, s51
	s_mul_hi_u32 s9, s26, s52
	v_readlane_b32 s53, v15, 29
	s_add_u32 s8, s10, s8
	s_mul_i32 s12, s27, s53
	s_addc_u32 s7, s9, s7
	s_mul_hi_u32 s11, s27, s53
	v_readlane_b32 s54, v15, 30
	s_add_u32 s8, s8, s12
	s_mul_i32 s14, s29, s54
	s_addc_u32 s7, s7, s11
	s_mul_hi_u32 s13, s29, s54
	v_readlane_b32 s46, v15, 31
	s_add_u32 s8, s8, s14
	v_readlane_b32 s47, v15, 32
	s_mul_i32 s16, s30, s46
	s_addc_u32 s7, s7, s13
	s_mul_hi_u32 s15, s30, s46
	v_readlane_b32 s47, v15, 33
	s_add_u32 s8, s8, s16
	s_mul_i32 s18, s31, s47
	s_addc_u32 s7, s7, s15
	s_mul_hi_u32 s4, s31, s47
	v_readlane_b32 s55, v15, 34
	s_add_u32 s8, s8, s18
	s_mul_i32 s21, s28, s55
	s_addc_u32 s4, s7, s4
	v_readlane_b32 s48, v15, 35
	s_mul_hi_u32 s19, s28, s55
	s_add_u32 s7, s8, s21
	s_mul_i32 s1, s20, s48
	s_addc_u32 s4, s4, s19
	s_mul_hi_u32 s0, s20, s48
	v_readlane_b32 s49, v15, 56
	s_add_u32 s1, s7, s1
	s_mul_i32 s3, s24, s49
	s_addc_u32 s0, s4, s0
	s_mul_hi_u32 s2, s24, s49
	v_readlane_b32 s50, v15, 55
	s_add_u32 s1, s1, s3
	s_mul_i32 s6, s17, s50
	s_addc_u32 s2, s0, s2
	s_mul_hi_u32 s5, s17, s50
	s_add_u32 s0, s1, s6
	s_addc_u32 s1, s2, s5
	s_and_b32 s16, s0, 0x3ffffff
	s_lshr_b64 s[0:1], s[0:1], 26
	s_mul_i32 s10, s25, s50
	s_mul_i32 s12, s26, s51
	s_mul_hi_u32 s9, s25, s50
	s_mul_hi_u32 s11, s26, s51
	s_add_u32 s10, s12, s10
	s_mul_i32 s14, s27, s52
	s_addc_u32 s9, s11, s9
	s_mul_hi_u32 s13, s27, s52
	s_add_u32 s10, s10, s14
	s_mul_i32 s18, s29, s53
	s_addc_u32 s9, s9, s13
	;; [unrolled: 4-line block ×7, first 2 shown]
	s_mul_hi_u32 s7, s17, s49
	s_add_u32 s6, s6, s8
	s_addc_u32 s4, s4, s7
	s_add_u32 s0, s6, s0
	s_addc_u32 s1, s4, s1
	s_and_b32 s4, s0, 0x3ffffff
	s_mul_i32 s3, s20, s55
	s_lshr_b64 s[0:1], s[0:1], 26
	s_mul_i32 s6, s4, 0x3d10
	s_mul_hi_u32 s2, s20, s55
	s_mul_hi_u32 s7, s4, 0x3d10
	s_add_u32 s6, s6, s3
	s_mov_b32 s5, 0
	s_addc_u32 s7, s7, s2
	s_and_b32 s34, s6, 0x3ffffff
	s_lshr_b64 s[6:7], s[6:7], 26
	s_lshl_b64 s[8:9], s[4:5], 10
	s_mul_i32 s14, s25, s49
	s_mul_i32 s18, s26, s50
	s_mul_hi_u32 s13, s25, s49
	s_mul_hi_u32 s15, s26, s50
	s_add_u32 s14, s18, s14
	s_mul_i32 s21, s27, s51
	s_addc_u32 s13, s15, s13
	s_mul_hi_u32 s19, s27, s51
	s_add_u32 s14, s14, s21
	s_mul_i32 s23, s29, s52
	s_addc_u32 s13, s13, s19
	;; [unrolled: 4-line block ×6, first 2 shown]
	s_mul_hi_u32 s4, s17, s48
	s_add_u32 s12, s14, s12
	s_addc_u32 s4, s13, s4
	s_add_u32 s0, s12, s0
	s_addc_u32 s1, s4, s1
	s_mul_i32 s3, s20, s47
	s_mul_i32 s11, s24, s55
	s_and_b32 s4, s0, 0x3ffffff
	s_lshr_b64 s[0:1], s[0:1], 26
	s_mul_hi_u32 s2, s20, s47
	s_mul_hi_u32 s10, s24, s55
	s_add_u32 s3, s11, s3
	s_addc_u32 s2, s10, s2
	s_add_u32 s3, s3, s8
	s_addc_u32 s2, s2, s9
	s_add_u32 s3, s3, s6
	s_mul_i32 s13, s4, 0x3d10
	s_addc_u32 s2, s2, s7
	s_mul_hi_u32 s12, s4, 0x3d10
	s_add_u32 s6, s3, s13
	s_addc_u32 s7, s2, s12
	s_and_b32 s35, s6, 0x3ffffff
	s_lshr_b64 s[6:7], s[6:7], 26
	s_lshl_b64 s[8:9], s[4:5], 10
	s_mul_i32 s14, s25, s48
	s_mul_i32 s18, s26, s49
	s_mul_hi_u32 s4, s25, s48
	s_mul_hi_u32 s15, s26, s49
	s_add_u32 s14, s18, s14
	s_mul_i32 s21, s27, s50
	s_addc_u32 s4, s15, s4
	s_mul_hi_u32 s19, s27, s50
	s_add_u32 s14, s14, s21
	s_mul_i32 s23, s29, s51
	s_addc_u32 s4, s4, s19
	;; [unrolled: 4-line block ×5, first 2 shown]
	s_mul_hi_u32 s39, s28, s54
	s_add_u32 s14, s14, s40
	s_addc_u32 s4, s4, s39
	s_add_u32 s0, s14, s0
	s_addc_u32 s1, s4, s1
	s_mul_i32 s3, s20, s46
	s_mul_i32 s11, s24, s47
	s_and_b32 s4, s0, 0x3ffffff
	s_lshr_b64 s[0:1], s[0:1], 26
	s_mul_hi_u32 s2, s20, s46
	s_mul_hi_u32 s10, s24, s47
	s_add_u32 s3, s11, s3
	s_mul_i32 s13, s17, s55
	s_addc_u32 s2, s10, s2
	s_mul_hi_u32 s12, s17, s55
	s_add_u32 s3, s3, s13
	s_addc_u32 s2, s2, s12
	s_add_u32 s3, s3, s8
	s_mul_i32 s15, s4, 0x3d10
	s_addc_u32 s2, s2, s9
	s_mul_hi_u32 s14, s4, 0x3d10
	s_add_u32 s3, s3, s15
	s_addc_u32 s2, s2, s14
	s_add_u32 s6, s3, s6
	s_addc_u32 s7, s2, s7
	s_and_b32 s36, s6, 0x3ffffff
	s_lshr_b64 s[6:7], s[6:7], 26
	s_lshl_b64 s[8:9], s[4:5], 10
	s_mul_i32 s18, s26, s48
	s_mul_i32 s21, s27, s49
	s_mul_hi_u32 s4, s26, s48
	s_mul_hi_u32 s19, s27, s49
	s_add_u32 s18, s21, s18
	s_mul_i32 s23, s29, s50
	s_addc_u32 s4, s19, s4
	s_mul_hi_u32 s22, s29, s50
	s_add_u32 s18, s18, s23
	s_mul_i32 s37, s30, s51
	s_addc_u32 s4, s4, s22
	;; [unrolled: 4-line block ×4, first 2 shown]
	s_mul_hi_u32 s40, s28, s53
	s_add_u32 s18, s18, s41
	s_addc_u32 s4, s4, s40
	s_add_u32 s0, s18, s0
	s_addc_u32 s1, s4, s1
	s_mul_i32 s3, s20, s54
	s_mul_i32 s15, s25, s55
	s_and_b32 s4, s0, 0x3ffffff
	s_lshr_b64 s[0:1], s[0:1], 26
	s_mul_hi_u32 s2, s20, s54
	s_mul_hi_u32 s14, s25, s55
	s_add_u32 s3, s3, s15
	s_mul_i32 s11, s24, s46
	s_addc_u32 s2, s2, s14
	s_mul_hi_u32 s10, s24, s46
	s_add_u32 s3, s3, s11
	s_mul_i32 s13, s17, s47
	s_addc_u32 s2, s2, s10
	s_mul_hi_u32 s12, s17, s47
	s_add_u32 s3, s3, s13
	s_addc_u32 s2, s2, s12
	s_add_u32 s3, s3, s8
	s_mul_i32 s19, s4, 0x3d10
	s_addc_u32 s2, s2, s9
	s_mul_hi_u32 s18, s4, 0x3d10
	s_add_u32 s3, s3, s19
	s_addc_u32 s2, s2, s18
	s_add_u32 s6, s3, s6
	s_addc_u32 s7, s2, s7
	s_lshr_b64 s[8:9], s[6:7], 26
	s_lshl_b64 s[10:11], s[4:5], 10
	s_mul_i32 s22, s27, s48
	s_mul_i32 s33, s29, s49
	s_mul_hi_u32 s4, s27, s48
	s_mul_hi_u32 s23, s29, s49
	s_add_u32 s22, s33, s22
	s_mul_i32 s38, s30, s50
	s_addc_u32 s4, s23, s4
	s_mul_hi_u32 s37, s30, s50
	s_add_u32 s22, s22, s38
	s_mul_i32 s40, s31, s51
	s_addc_u32 s4, s4, s37
	;; [unrolled: 4-line block ×3, first 2 shown]
	s_mul_hi_u32 s41, s28, s52
	s_add_u32 s22, s22, s42
	s_addc_u32 s4, s4, s41
	s_add_u32 s0, s22, s0
	s_addc_u32 s1, s4, s1
	s_mul_i32 s18, s25, s47
	s_mul_i32 s21, s26, s55
	s_and_b32 s4, s0, 0x3ffffff
	s_lshr_b64 s[0:1], s[0:1], 26
	s_mul_hi_u32 s15, s25, s47
	s_mul_hi_u32 s19, s26, s55
	s_add_u32 s18, s21, s18
	s_mul_i32 s3, s20, s53
	s_addc_u32 s15, s19, s15
	s_mul_hi_u32 s2, s20, s53
	s_add_u32 s3, s18, s3
	s_mul_i32 s12, s24, s54
	s_addc_u32 s2, s15, s2
	;; [unrolled: 4-line block ×3, first 2 shown]
	s_mul_hi_u32 s13, s17, s46
	s_add_u32 s3, s3, s14
	s_addc_u32 s2, s2, s13
	s_add_u32 s3, s3, s10
	s_mul_i32 s23, s4, 0x3d10
	s_addc_u32 s2, s2, s11
	s_mul_hi_u32 s22, s4, 0x3d10
	s_add_u32 s3, s3, s23
	s_addc_u32 s2, s2, s22
	s_add_u32 s8, s3, s8
	s_addc_u32 s9, s2, s9
	s_lshr_b64 s[10:11], s[8:9], 26
	s_lshl_b64 s[12:13], s[4:5], 10
	s_mul_i32 s37, s29, s48
	s_mul_i32 s39, s30, s49
	s_mul_hi_u32 s4, s29, s48
	s_mul_hi_u32 s38, s30, s49
	s_add_u32 s37, s39, s37
	s_mul_i32 s41, s31, s50
	s_addc_u32 s4, s38, s4
	s_mul_hi_u32 s40, s31, s50
	s_add_u32 s37, s37, s41
	s_mul_i32 s43, s28, s51
	s_addc_u32 s4, s4, s40
	s_mul_hi_u32 s42, s28, s51
	s_add_u32 s37, s37, s43
	s_addc_u32 s4, s4, s42
	s_add_u32 s0, s37, s0
	s_addc_u32 s1, s4, s1
	s_mul_i32 s19, s25, s46
	s_mul_i32 s22, s26, s47
	s_and_b32 s4, s0, 0x3ffffff
	s_lshr_b64 s[0:1], s[0:1], 26
	s_mul_hi_u32 s18, s25, s46
	s_mul_hi_u32 s21, s26, s47
	s_add_u32 s19, s22, s19
	s_mul_i32 s33, s27, s55
	s_addc_u32 s18, s21, s18
	s_mul_hi_u32 s23, s27, s55
	s_add_u32 s19, s19, s33
	s_mul_i32 s3, s20, s52
	s_addc_u32 s18, s18, s23
	;; [unrolled: 4-line block ×4, first 2 shown]
	s_mul_hi_u32 s14, s17, s54
	s_add_u32 s3, s3, s15
	s_addc_u32 s2, s2, s14
	s_add_u32 s3, s3, s12
	s_mul_i32 s38, s4, 0x3d10
	s_addc_u32 s2, s2, s13
	s_mul_hi_u32 s37, s4, 0x3d10
	s_add_u32 s3, s3, s38
	s_addc_u32 s2, s2, s37
	s_add_u32 s10, s3, s10
	s_addc_u32 s11, s2, s11
	s_lshr_b64 s[12:13], s[10:11], 26
	s_lshl_b64 s[14:15], s[4:5], 10
	s_mul_i32 s40, s30, s48
	s_mul_i32 s42, s31, s49
	s_mul_hi_u32 s4, s30, s48
	s_mul_hi_u32 s41, s31, s49
	s_add_u32 s40, s42, s40
	s_mul_i32 s44, s28, s50
	s_addc_u32 s4, s41, s4
	s_mul_hi_u32 s43, s28, s50
	s_add_u32 s40, s40, s44
	s_addc_u32 s4, s4, s43
	s_add_u32 s0, s40, s0
	s_addc_u32 s1, s4, s1
	s_mul_i32 s21, s25, s54
	s_mul_i32 s23, s26, s46
	s_and_b32 s4, s0, 0x3ffffff
	s_lshr_b64 s[0:1], s[0:1], 26
	s_mul_hi_u32 s19, s25, s54
	s_mul_hi_u32 s22, s26, s46
	s_add_u32 s21, s23, s21
	s_mul_i32 s37, s27, s47
	s_addc_u32 s19, s22, s19
	s_mul_hi_u32 s33, s27, s47
	s_add_u32 s21, s21, s37
	s_mul_i32 s39, s29, s55
	s_addc_u32 s19, s19, s33
	;; [unrolled: 4-line block ×5, first 2 shown]
	s_mul_hi_u32 s11, s17, s53
	s_add_u32 s3, s3, s18
	s_addc_u32 s2, s2, s11
	s_add_u32 s3, s3, s14
	s_mul_i32 s41, s4, 0x3d10
	s_addc_u32 s2, s2, s15
	s_mul_hi_u32 s40, s4, 0x3d10
	s_add_u32 s3, s3, s41
	s_addc_u32 s2, s2, s40
	s_add_u32 s12, s3, s12
	s_addc_u32 s13, s2, s13
	s_lshr_b64 s[14:15], s[12:13], 26
	s_lshl_b64 s[38:39], s[4:5], 10
	s_mul_i32 s43, s31, s48
	s_mul_i32 s45, s28, s49
	s_mul_hi_u32 s4, s31, s48
	s_mul_hi_u32 s44, s28, s49
	s_add_u32 s43, s45, s43
	s_addc_u32 s4, s44, s4
	s_add_u32 s0, s43, s0
	s_addc_u32 s1, s4, s1
	s_mul_i32 s19, s25, s53
	s_mul_i32 s22, s26, s54
	s_and_b32 s4, s0, 0x3ffffff
	s_lshr_b64 s[0:1], s[0:1], 26
	s_mul_hi_u32 s18, s25, s53
	s_mul_hi_u32 s21, s26, s54
	s_add_u32 s19, s22, s19
	s_mul_i32 s33, s27, s46
	s_addc_u32 s18, s21, s18
	s_mul_hi_u32 s23, s27, s46
	s_add_u32 s19, s19, s33
	s_mul_i32 s40, s29, s47
	s_addc_u32 s18, s18, s23
	;; [unrolled: 4-line block ×6, first 2 shown]
	s_mul_hi_u32 s11, s17, s52
	s_add_u32 s3, s3, s13
	s_addc_u32 s2, s2, s11
	s_add_u32 s3, s3, s38
	s_mul_i32 s44, s4, 0x3d10
	s_addc_u32 s2, s2, s39
	s_mul_hi_u32 s43, s4, 0x3d10
	s_add_u32 s3, s3, s44
	s_addc_u32 s2, s2, s43
	s_add_u32 s14, s3, s14
	s_addc_u32 s15, s2, s15
	s_lshr_b64 s[38:39], s[14:15], 26
	s_lshl_b64 s[40:41], s[4:5], 10
	s_mul_hi_u32 s4, s28, s48
	s_mul_i32 s28, s28, s48
	s_mul_hi_u32 s2, s20, s49
	s_mul_i32 s3, s20, s49
	s_add_u32 s20, s0, s28
	s_addc_u32 s21, s1, s4
	s_mul_hi_u32 s7, s24, s50
	s_mul_i32 s9, s24, s50
	s_mul_hi_u32 s11, s17, s51
	s_mul_i32 s13, s17, s51
	s_mul_hi_u32 s15, s25, s52
	s_mul_i32 s17, s25, s52
	s_mul_hi_u32 s18, s26, s53
	s_mul_i32 s26, s26, s53
	s_and_b32 s4, s20, 0x3ffffff
	s_lshr_b64 s[24:25], s[20:21], 26
	s_add_u32 s17, s26, s17
	s_mul_hi_u32 s19, s27, s54
	s_mul_i32 s27, s27, s54
	s_addc_u32 s15, s18, s15
	s_add_u32 s17, s17, s27
	s_mul_hi_u32 s22, s29, s46
	s_mul_i32 s29, s29, s46
	s_addc_u32 s15, s15, s19
	s_add_u32 s17, s17, s29
	s_mul_hi_u32 s23, s30, s47
	s_mul_i32 s30, s30, s47
	s_addc_u32 s15, s15, s22
	s_add_u32 s17, s17, s30
	s_mul_hi_u32 s33, s31, s55
	s_mul_i32 s31, s31, s55
	s_addc_u32 s15, s15, s23
	s_add_u32 s17, s17, s31
	s_addc_u32 s15, s15, s33
	s_add_u32 s3, s17, s3
	s_addc_u32 s2, s15, s2
	;; [unrolled: 2-line block ×4, first 2 shown]
	s_add_u32 s3, s3, s40
	s_mul_i32 s1, s4, 0x3d10
	s_addc_u32 s2, s2, s41
	s_mul_hi_u32 s0, s4, 0x3d10
	s_add_u32 s1, s3, s1
	s_addc_u32 s2, s2, s0
	s_add_u32 s0, s1, s38
	v_mov_b32_e32 v0, s20
	s_addc_u32 s1, s2, s39
	v_alignbit_b32 v0, s21, v0, 26
	s_lshr_b64 s[26:27], s[0:1], 26
	v_readfirstlane_b32 s1, v0
	s_lshl_b64 s[28:29], s[4:5], 10
	s_mul_hi_u32 s2, s1, 0x3d10
	s_mulk_i32 s1, 0x3d10
	s_add_u32 s1, s1, s16
	s_addc_u32 s2, s2, 0
	s_add_u32 s1, s1, s28
	s_addc_u32 s2, s2, s29
	;; [unrolled: 2-line block ×3, first 2 shown]
	s_lshr_b64 s[16:17], s[26:27], 22
	s_lshl_b64 s[20:21], s[24:25], 14
	s_add_u32 s16, s16, s20
	s_addc_u32 s17, s17, s21
	s_mul_i32 s1, s17, 0x3d1
	s_mul_hi_u32 s2, s16, 0x3d1
	s_add_i32 s2, s2, s1
	s_mul_i32 s1, s16, 0x3d1
	s_add_u32 s24, s1, s34
	s_addc_u32 s25, s2, 0
	s_lshr_b64 s[20:21], s[24:25], 26
	s_lshl_b64 s[16:17], s[16:17], 6
	s_add_u32 s1, s16, s35
	s_addc_u32 s2, s17, 0
	s_add_u32 s16, s1, s20
	s_addc_u32 s17, s2, s21
	v_readlane_b32 s92, v15, 18
	s_lshr_b64 s[20:21], s[16:17], 26
	v_readlane_b32 s88, v15, 0
	v_readlane_b32 s93, v15, 19
	s_add_u32 s15, s20, s36
	s_mov_b32 s18, 23
	v_readlane_b32 s90, v15, 2
	v_readlane_b32 s91, v15, 3
	;; [unrolled: 1-line block ×5, first 2 shown]
.LBB0_21:                               ; =>This Inner Loop Header: Depth=1
	s_lshl_b32 s21, s24, 1
	s_lshl_b32 s25, s16, 1
	;; [unrolled: 1-line block ×4, first 2 shown]
	s_and_b32 s1, s26, 0x3fffff
	s_and_b32 s13, s12, 0x3ffffff
	;; [unrolled: 1-line block ×8, first 2 shown]
	s_lshl_b32 s9, s15, 1
	s_and_b32 s7, s14, 0x3ffffff
	s_mul_i32 s33, s13, s25
	s_mul_i32 s47, s21, s4
	s_mul_hi_u32 s23, s13, s25
	s_mul_hi_u32 s49, s21, s4
	s_add_u32 s33, s33, s47
	s_mul_i32 s63, s7, s9
	s_addc_u32 s23, s23, s49
	s_mul_hi_u32 s60, s7, s9
	s_mul_hi_u32 s53, s4, s4
	s_mul_i32 s54, s4, s4
	s_mul_hi_u32 s36, s4, s9
	s_mul_i32 s37, s4, s9
	;; [unrolled: 2-line block ×9, first 2 shown]
	s_add_u32 s4, s33, s63
	s_mul_i32 s22, s11, s26
	s_addc_u32 s23, s23, s60
	s_mul_hi_u32 s19, s11, s26
	s_add_u32 s4, s4, s22
	s_mul_i32 s3, s1, s27
	s_addc_u32 s19, s23, s19
	s_mul_hi_u32 s2, s1, s27
	s_add_u32 s68, s4, s3
	s_addc_u32 s69, s19, s2
	s_and_b32 s2, s24, 0x3ffffff
	s_and_b32 s24, s68, 0x3fffffe
	s_lshr_b64 s[68:69], s[68:69], 26
	s_add_u32 s4, s71, s54
	s_mul_i32 s59, s7, s25
	s_addc_u32 s19, s70, s53
	s_mul_hi_u32 s58, s7, s25
	s_add_u32 s4, s4, s59
	s_mul_i32 s51, s11, s9
	s_addc_u32 s19, s19, s58
	s_mul_hi_u32 s48, s11, s9
	;; [unrolled: 4-line block ×3, first 2 shown]
	s_add_u32 s4, s4, s57
	s_addc_u32 s19, s19, s56
	s_add_u32 s68, s4, s68
	s_addc_u32 s69, s19, s69
	s_and_b32 s4, s68, 0x3ffffff
	s_mul_hi_u32 s3, s2, s2
	s_mul_i32 s2, s2, s2
	s_lshr_b64 s[68:69], s[68:69], 26
	s_mul_i32 s22, s4, 0x3d10
	s_mul_hi_u32 s19, s4, 0x3d10
	s_add_u32 s70, s22, s2
	s_addc_u32 s71, s19, s3
	s_lshl_b32 s3, s10, 1
	s_and_b32 s3, s3, 0x7fffffe
	s_mul_hi_u32 s40, s13, s13
	s_mul_i32 s41, s13, s13
	s_mul_hi_u32 s30, s13, s9
	s_mul_i32 s31, s13, s9
	;; [unrolled: 2-line block ×4, first 2 shown]
	s_and_b32 s48, s70, 0x3fffffd
	s_lshl_b64 s[72:73], s[4:5], 10
	s_and_b32 s2, s16, 0x3ffffff
	s_lshr_b64 s[70:71], s[70:71], 26
	s_mul_hi_u32 s4, s3, s13
	s_mul_i32 s13, s3, s13
	s_add_u32 s13, s77, s13
	s_mul_i32 s75, s11, s25
	s_addc_u32 s4, s76, s4
	s_mul_hi_u32 s74, s11, s25
	s_add_u32 s13, s13, s75
	s_mul_i32 s45, s1, s9
	s_addc_u32 s4, s4, s74
	s_mul_hi_u32 s44, s1, s9
	s_add_u32 s13, s13, s45
	s_addc_u32 s4, s4, s44
	s_add_u32 s44, s13, s68
	s_addc_u32 s45, s4, s69
	s_mul_i32 s16, s27, s2
	s_and_b32 s4, s44, 0x3ffffff
	s_lshr_b64 s[44:45], s[44:45], 26
	s_mul_hi_u32 s10, s27, s2
	s_add_u32 s16, s72, s16
	s_addc_u32 s10, s73, s10
	s_add_u32 s16, s16, s70
	s_mul_i32 s54, s4, 0x3d10
	s_addc_u32 s10, s10, s71
	s_mul_hi_u32 s13, s4, 0x3d10
	s_add_u32 s68, s16, s54
	s_addc_u32 s69, s10, s13
	s_mul_i32 s23, s7, s3
	s_and_b32 s16, s68, 0x3ffffff
	s_lshl_b64 s[70:71], s[4:5], 10
	s_lshr_b64 s[68:69], s[68:69], 26
	s_mul_hi_u32 s22, s7, s3
	s_add_u32 s4, s23, s41
	s_addc_u32 s10, s22, s40
	s_add_u32 s4, s4, s83
	s_mul_i32 s81, s1, s25
	s_addc_u32 s10, s10, s82
	s_mul_hi_u32 s80, s1, s25
	s_add_u32 s4, s4, s81
	s_addc_u32 s10, s10, s80
	s_add_u32 s40, s4, s44
	s_addc_u32 s41, s10, s45
	s_mul_i32 s79, s15, s27
	s_mul_hi_u32 s19, s2, s2
	s_mul_i32 s2, s2, s2
	s_and_b32 s4, s40, 0x3ffffff
	s_lshr_b64 s[44:45], s[40:41], 26
	s_mul_hi_u32 s78, s15, s27
	s_add_u32 s2, s79, s2
	s_addc_u32 s19, s78, s19
	s_add_u32 s2, s2, s70
	s_mul_i32 s13, s4, 0x3d10
	s_addc_u32 s19, s19, s71
	s_mul_hi_u32 s10, s4, 0x3d10
	s_add_u32 s2, s2, s13
	s_addc_u32 s10, s19, s10
	s_add_u32 s68, s2, s68
	s_addc_u32 s69, s10, s69
	s_lshl_b64 s[70:71], s[4:5], 10
	s_lshl_b32 s4, s12, 1
	s_and_b32 s4, s4, 0x7fffffe
	s_mul_hi_u32 s17, s15, s15
	s_mul_i32 s20, s15, s15
	s_mul_hi_u32 s28, s7, s7
	s_mul_i32 s29, s7, s7
	;; [unrolled: 2-line block ×5, first 2 shown]
	s_mul_i32 s51, s11, s3
	s_and_b32 s40, s68, 0x3ffffff
	s_and_b32 s2, s6, 0x3ffffff
	s_lshr_b64 s[12:13], s[68:69], 26
	s_mul_hi_u32 s6, s4, s7
	s_mul_i32 s7, s4, s7
	s_mul_hi_u32 s33, s11, s3
	s_mul_hi_u32 s57, s11, s4
	s_mul_i32 s58, s11, s4
	s_mul_hi_u32 s59, s1, s4
	s_mul_i32 s60, s1, s4
	s_add_u32 s4, s51, s7
	s_addc_u32 s6, s33, s6
	s_add_u32 s4, s4, s87
	s_addc_u32 s7, s6, s86
	;; [unrolled: 2-line block ×3, first 2 shown]
	s_mul_i32 s19, s2, s27
	s_and_b32 s4, s6, 0x3ffffff
	s_lshr_b64 s[44:45], s[6:7], 26
	s_mul_hi_u32 s10, s2, s27
	s_add_u32 s19, s19, s85
	s_addc_u32 s10, s10, s84
	s_add_u32 s19, s19, s70
	s_mul_i32 s7, s4, 0x3d10
	s_addc_u32 s10, s10, s71
	s_mul_hi_u32 s6, s4, 0x3d10
	s_add_u32 s7, s19, s7
	s_addc_u32 s10, s10, s6
	s_add_u32 s6, s7, s12
	s_addc_u32 s7, s10, s13
	s_lshl_b64 s[12:13], s[4:5], 10
	s_and_b32 s4, s8, 0x3ffffff
	s_lshr_b64 s[68:69], s[6:7], 26
	s_mul_hi_u32 s7, s4, s27
	s_mul_i32 s10, s4, s27
	s_mul_hi_u32 s19, s4, s26
	s_mul_i32 s33, s4, s26
	;; [unrolled: 2-line block ×5, first 2 shown]
	s_add_u32 s4, s58, s29
	s_mul_hi_u32 s53, s1, s3
	s_mul_i32 s3, s1, s3
	s_addc_u32 s8, s57, s28
	s_add_u32 s3, s4, s3
	s_addc_u32 s4, s8, s53
	s_add_u32 s8, s3, s44
	s_mul_hi_u32 s41, s9, s2
	s_mul_i32 s54, s9, s2
	s_addc_u32 s9, s4, s45
	s_mul_hi_u32 s42, s11, s27
	s_mul_i32 s43, s11, s27
	s_mul_hi_u32 s22, s2, s26
	s_mul_i32 s23, s2, s26
	s_and_b32 s4, s8, 0x3ffffff
	s_lshr_b64 s[26:27], s[8:9], 26
	s_add_u32 s9, s23, s20
	s_addc_u32 s17, s22, s17
	s_add_u32 s9, s9, s10
	s_addc_u32 s7, s17, s7
	s_add_u32 s9, s9, s12
	s_mul_i32 s8, s4, 0x3d10
	s_addc_u32 s7, s7, s13
	s_mul_hi_u32 s3, s4, 0x3d10
	s_add_u32 s8, s9, s8
	s_addc_u32 s3, s7, s3
	s_add_u32 s8, s8, s68
	s_addc_u32 s9, s3, s69
	s_lshl_b32 s3, s14, 1
	s_and_b32 s3, s3, 0x7fffffe
	s_lshl_b64 s[12:13], s[4:5], 10
	s_lshr_b64 s[28:29], s[8:9], 26
	s_mul_i32 s7, s3, s11
	s_mul_hi_u32 s4, s3, s11
	s_add_u32 s7, s60, s7
	s_addc_u32 s4, s59, s4
	s_add_u32 s10, s7, s26
	s_mul_hi_u32 s34, s11, s11
	s_mul_i32 s35, s11, s11
	s_addc_u32 s11, s4, s27
	s_and_b32 s4, s10, 0x3ffffff
	s_lshr_b64 s[26:27], s[10:11], 26
	s_add_u32 s11, s33, s54
	s_addc_u32 s14, s19, s41
	s_add_u32 s11, s11, s21
	s_addc_u32 s14, s14, s64
	s_add_u32 s11, s11, s12
	s_mul_i32 s10, s4, 0x3d10
	s_addc_u32 s12, s14, s13
	s_mul_hi_u32 s7, s4, 0x3d10
	s_add_u32 s10, s11, s10
	s_addc_u32 s7, s12, s7
	s_add_u32 s10, s10, s28
	s_addc_u32 s11, s7, s29
	s_mul_hi_u32 s9, s1, s3
	s_mul_i32 s3, s1, s3
	s_lshl_b64 s[12:13], s[4:5], 10
	s_lshr_b64 s[20:21], s[10:11], 26
	s_add_u32 s3, s3, s35
	s_addc_u32 s4, s9, s34
	s_add_u32 s26, s3, s26
	s_addc_u32 s27, s4, s27
	s_mul_hi_u32 s56, s2, s2
	s_mul_i32 s2, s2, s2
	s_and_b32 s4, s26, 0x3ffffff
	s_lshr_b64 s[26:27], s[26:27], 26
	s_add_u32 s2, s63, s2
	s_addc_u32 s9, s51, s56
	s_add_u32 s2, s2, s65
	s_addc_u32 s9, s9, s66
	;; [unrolled: 2-line block ×3, first 2 shown]
	s_add_u32 s2, s2, s12
	s_mul_i32 s7, s4, 0x3d10
	s_addc_u32 s9, s9, s13
	s_mul_hi_u32 s3, s4, 0x3d10
	s_add_u32 s2, s2, s7
	s_addc_u32 s3, s9, s3
	s_add_u32 s12, s2, s20
	s_addc_u32 s13, s3, s21
	s_lshl_b32 s0, s0, 1
	s_and_b32 s0, s0, 0x7fffffe
	s_lshl_b64 s[20:21], s[4:5], 10
	s_lshr_b64 s[28:29], s[12:13], 26
	s_mul_hi_u32 s2, s0, s1
	s_mul_i32 s0, s0, s1
	s_add_u32 s0, s26, s0
	s_mul_hi_u32 s38, s1, s1
	s_mul_i32 s39, s1, s1
	s_addc_u32 s1, s27, s2
	s_and_b32 s4, s0, 0x3ffffff
	s_lshr_b64 s[0:1], s[0:1], 26
	s_add_u32 s7, s37, s25
	s_addc_u32 s9, s36, s70
	s_add_u32 s7, s7, s62
	s_addc_u32 s9, s9, s55
	;; [unrolled: 2-line block ×3, first 2 shown]
	s_add_u32 s7, s7, s20
	s_mul_i32 s3, s4, 0x3d10
	s_addc_u32 s9, s9, s21
	s_mul_hi_u32 s2, s4, 0x3d10
	s_add_u32 s3, s7, s3
	s_addc_u32 s2, s9, s2
	s_add_u32 s14, s3, s28
	s_addc_u32 s15, s2, s29
	s_lshl_b64 s[20:21], s[4:5], 10
	s_lshr_b64 s[26:27], s[14:15], 26
	s_add_u32 s0, s0, s39
	s_addc_u32 s1, s1, s38
	s_and_b32 s4, s0, 0x3ffffff
	v_mov_b32_e32 v0, s0
	s_lshr_b64 s[28:29], s[0:1], 26
	v_alignbit_b32 v0, s1, v0, 26
	s_add_u32 s1, s50, s72
	s_addc_u32 s7, s49, s71
	s_add_u32 s1, s1, s31
	s_addc_u32 s7, s7, s30
	;; [unrolled: 2-line block ×4, first 2 shown]
	s_add_u32 s1, s1, s20
	s_mul_i32 s2, s4, 0x3d10
	s_addc_u32 s7, s7, s21
	s_mul_hi_u32 s0, s4, 0x3d10
	s_add_u32 s1, s1, s2
	s_addc_u32 s2, s7, s0
	s_add_u32 s0, s1, s26
	v_readfirstlane_b32 s3, v0
	s_addc_u32 s1, s2, s27
	s_mul_hi_u32 s9, s3, 0x3d10
	s_mulk_i32 s3, 0x3d10
	s_lshl_b64 s[20:21], s[4:5], 10
	s_lshr_b64 s[26:27], s[0:1], 26
	s_add_u32 s1, s3, s24
	s_addc_u32 s2, s9, 0
	s_add_u32 s1, s1, s20
	s_addc_u32 s2, s2, s21
	;; [unrolled: 2-line block ×3, first 2 shown]
	s_lshl_b64 s[20:21], s[28:29], 14
	s_lshr_b64 s[24:25], s[26:27], 22
	s_add_u32 s20, s24, s20
	s_addc_u32 s21, s25, s21
	s_mul_hi_u32 s1, s20, 0x3d1
	s_mul_i32 s3, s21, 0x3d1
	s_mul_i32 s2, s20, 0x3d1
	s_add_i32 s1, s1, s3
	s_add_u32 s24, s2, s48
	s_addc_u32 s25, s1, 0
	s_lshl_b64 s[20:21], s[20:21], 6
	s_lshr_b64 s[28:29], s[24:25], 26
	s_add_u32 s1, s20, s16
	s_addc_u32 s2, s21, 0
	s_add_u32 s16, s1, s28
	s_addc_u32 s17, s2, s29
	s_lshr_b64 s[20:21], s[16:17], 26
	s_add_i32 s18, s18, -1
	s_add_u32 s15, s20, s40
	s_cmp_lg_u32 s18, 0
	s_cbranch_scc1 .LBB0_21
; %bb.22:
	s_and_b32 s18, s6, 0x3ffffff
	v_readlane_b32 s51, v15, 40
	s_and_b32 s20, s8, 0x3ffffff
	v_readlane_b32 s52, v15, 41
	s_and_b32 s17, s24, 0x3ffffff
	s_and_b32 s16, s16, 0x3ffffff
	s_mul_i32 s9, s18, s51
	s_mul_i32 s11, s20, s52
	s_and_b32 s24, s10, 0x3ffffff
	s_and_b32 s25, s12, 0x3ffffff
	;; [unrolled: 1-line block ×5, first 2 shown]
	s_mul_hi_u32 s6, s18, s51
	s_mul_hi_u32 s8, s20, s52
	v_readlane_b32 s53, v15, 42
	s_add_u32 s9, s11, s9
	s_mul_i32 s13, s24, s53
	s_addc_u32 s6, s8, s6
	s_mul_hi_u32 s10, s24, s53
	v_readlane_b32 s54, v15, 43
	s_add_u32 s8, s9, s13
	s_mul_i32 s19, s25, s54
	s_addc_u32 s6, s6, s10
	s_mul_hi_u32 s12, s25, s54
	v_readlane_b32 s46, v15, 36
	s_add_u32 s8, s8, s19
	v_readlane_b32 s47, v15, 37
	s_mul_i32 s21, s27, s46
	s_addc_u32 s6, s6, s12
	s_mul_hi_u32 s14, s27, s46
	v_readlane_b32 s47, v15, 44
	s_add_u32 s8, s8, s21
	s_mul_i32 s22, s28, s47
	s_addc_u32 s6, s6, s14
	s_mul_hi_u32 s0, s28, s47
	v_readlane_b32 s55, v15, 45
	s_add_u32 s8, s8, s22
	s_mul_i32 s29, s26, s55
	s_addc_u32 s0, s6, s0
	v_readlane_b32 s48, v15, 46
	s_mul_hi_u32 s23, s26, s55
	s_add_u32 s6, s8, s29
	s_mul_i32 s2, s17, s48
	s_addc_u32 s0, s0, s23
	s_mul_hi_u32 s1, s17, s48
	v_readlane_b32 s49, v15, 38
	s_add_u32 s2, s6, s2
	s_mul_i32 s4, s16, s49
	s_addc_u32 s0, s0, s1
	s_mul_hi_u32 s3, s16, s49
	v_readlane_b32 s50, v15, 39
	s_add_u32 s1, s2, s4
	s_mul_i32 s7, s15, s50
	s_addc_u32 s0, s0, s3
	s_mul_hi_u32 s5, s15, s50
	s_add_u32 s4, s1, s7
	s_addc_u32 s5, s0, s5
	s_and_b32 s14, s4, 0x3ffffff
	s_lshr_b64 s[4:5], s[4:5], 26
	s_mul_i32 s10, s18, s50
	s_mul_i32 s12, s20, s51
	s_mul_hi_u32 s9, s18, s50
	s_mul_hi_u32 s11, s20, s51
	s_add_u32 s10, s12, s10
	s_mul_i32 s19, s24, s52
	s_addc_u32 s9, s11, s9
	s_mul_hi_u32 s13, s24, s52
	s_add_u32 s10, s10, s19
	s_mul_i32 s22, s25, s53
	s_addc_u32 s9, s9, s13
	;; [unrolled: 4-line block ×7, first 2 shown]
	s_mul_hi_u32 s7, s15, s49
	s_add_u32 s6, s6, s8
	s_addc_u32 s0, s0, s7
	s_add_u32 s4, s6, s4
	s_addc_u32 s5, s0, s5
	s_and_b32 s0, s4, 0x3ffffff
	s_mul_i32 s3, s17, s55
	s_lshr_b64 s[4:5], s[4:5], 26
	s_mul_i32 s6, s0, 0x3d10
	s_mul_hi_u32 s2, s17, s55
	s_mul_hi_u32 s7, s0, 0x3d10
	s_add_u32 s6, s6, s3
	s_mov_b32 s1, 0
	s_addc_u32 s7, s7, s2
	s_and_b32 s29, s6, 0x3ffffff
	s_lshr_b64 s[6:7], s[6:7], 26
	s_lshl_b64 s[8:9], s[0:1], 10
	s_mul_i32 s19, s18, s49
	s_mul_i32 s22, s20, s50
	s_mul_hi_u32 s13, s18, s49
	s_mul_hi_u32 s21, s20, s50
	s_add_u32 s19, s22, s19
	s_mul_i32 s30, s24, s51
	s_addc_u32 s13, s21, s13
	s_mul_hi_u32 s23, s24, s51
	s_add_u32 s19, s19, s30
	s_mul_i32 s33, s25, s52
	s_addc_u32 s13, s13, s23
	s_mul_hi_u32 s31, s25, s52
	s_add_u32 s19, s19, s33
	s_mul_i32 s35, s27, s53
	s_addc_u32 s13, s13, s31
	s_mul_hi_u32 s34, s27, s53
	s_add_u32 s19, s19, s35
	s_mul_i32 s37, s28, s54
	s_addc_u32 s13, s13, s34
	s_mul_hi_u32 s36, s28, s54
	s_add_u32 s19, s19, s37
	s_mul_i32 s39, s26, s46
	s_addc_u32 s13, s13, s36
	s_mul_hi_u32 s38, s26, s46
	s_add_u32 s19, s19, s39
	s_mul_i32 s12, s15, s48
	s_addc_u32 s13, s13, s38
	s_mul_hi_u32 s0, s15, s48
	s_add_u32 s12, s19, s12
	s_addc_u32 s0, s13, s0
	s_add_u32 s4, s12, s4
	s_addc_u32 s5, s0, s5
	s_mul_i32 s3, s17, s47
	s_mul_i32 s11, s16, s55
	s_and_b32 s0, s4, 0x3ffffff
	s_lshr_b64 s[4:5], s[4:5], 26
	s_mul_hi_u32 s2, s17, s47
	s_mul_hi_u32 s10, s16, s55
	s_add_u32 s3, s11, s3
	s_addc_u32 s2, s10, s2
	s_add_u32 s3, s3, s8
	s_addc_u32 s2, s2, s9
	s_add_u32 s3, s3, s6
	s_mul_i32 s13, s0, 0x3d10
	s_addc_u32 s2, s2, s7
	s_mul_hi_u32 s12, s0, 0x3d10
	s_add_u32 s6, s3, s13
	s_addc_u32 s7, s2, s12
	s_and_b32 s30, s6, 0x3ffffff
	s_lshr_b64 s[6:7], s[6:7], 26
	s_lshl_b64 s[8:9], s[0:1], 10
	s_mul_i32 s19, s18, s48
	s_mul_i32 s22, s20, s49
	s_mul_hi_u32 s0, s18, s48
	s_mul_hi_u32 s21, s20, s49
	s_add_u32 s19, s22, s19
	s_mul_i32 s31, s24, s50
	s_addc_u32 s0, s21, s0
	s_mul_hi_u32 s23, s24, s50
	s_add_u32 s19, s19, s31
	s_mul_i32 s34, s25, s51
	s_addc_u32 s0, s0, s23
	;; [unrolled: 4-line block ×5, first 2 shown]
	s_mul_hi_u32 s39, s26, s54
	s_add_u32 s19, s19, s40
	s_addc_u32 s0, s0, s39
	s_add_u32 s4, s19, s4
	s_addc_u32 s5, s0, s5
	s_mul_i32 s3, s17, s46
	s_mul_i32 s11, s16, s47
	s_and_b32 s0, s4, 0x3ffffff
	s_lshr_b64 s[4:5], s[4:5], 26
	s_mul_hi_u32 s2, s17, s46
	s_mul_hi_u32 s10, s16, s47
	s_add_u32 s3, s11, s3
	s_mul_i32 s13, s15, s55
	s_addc_u32 s2, s10, s2
	s_mul_hi_u32 s12, s15, s55
	s_add_u32 s3, s3, s13
	s_addc_u32 s2, s2, s12
	s_add_u32 s3, s3, s8
	s_mul_i32 s21, s0, 0x3d10
	s_addc_u32 s2, s2, s9
	s_mul_hi_u32 s19, s0, 0x3d10
	s_add_u32 s3, s3, s21
	s_addc_u32 s2, s2, s19
	s_add_u32 s6, s3, s6
	s_addc_u32 s7, s2, s7
	s_and_b32 s31, s6, 0x3ffffff
	s_lshr_b64 s[6:7], s[6:7], 26
	s_lshl_b64 s[8:9], s[0:1], 10
	s_mul_i32 s10, s20, s48
	s_mul_i32 s33, s24, s49
	s_mul_hi_u32 s0, s20, s48
	s_mul_hi_u32 s11, s24, s49
	s_add_u32 s10, s33, s10
	s_mul_i32 s35, s25, s50
	s_addc_u32 s0, s11, s0
	s_mul_hi_u32 s34, s25, s50
	s_add_u32 s10, s10, s35
	s_mul_i32 s37, s27, s51
	s_addc_u32 s0, s0, s34
	;; [unrolled: 4-line block ×4, first 2 shown]
	s_mul_hi_u32 s40, s26, s53
	s_add_u32 s10, s10, s41
	s_addc_u32 s0, s0, s40
	s_add_u32 s4, s10, s4
	s_addc_u32 s5, s0, s5
	s_mul_i32 s3, s17, s54
	s_mul_i32 s23, s18, s55
	s_and_b32 s0, s4, 0x3ffffff
	s_lshr_b64 s[10:11], s[4:5], 26
	s_mul_hi_u32 s2, s17, s54
	s_mul_hi_u32 s22, s18, s55
	s_add_u32 s3, s3, s23
	s_mul_i32 s13, s16, s46
	s_addc_u32 s2, s2, s22
	s_mul_hi_u32 s12, s16, s46
	s_add_u32 s3, s3, s13
	s_mul_i32 s21, s15, s47
	s_addc_u32 s2, s2, s12
	s_mul_hi_u32 s19, s15, s47
	s_add_u32 s3, s3, s21
	s_addc_u32 s2, s2, s19
	s_add_u32 s3, s3, s8
	s_mul_i32 s5, s0, 0x3d10
	s_addc_u32 s2, s2, s9
	s_mul_hi_u32 s4, s0, 0x3d10
	s_add_u32 s3, s3, s5
	s_addc_u32 s2, s2, s4
	s_add_u32 s4, s3, s6
	s_addc_u32 s5, s2, s7
	s_lshr_b64 s[6:7], s[4:5], 26
	s_lshl_b64 s[8:9], s[0:1], 10
	s_mul_i32 s34, s24, s48
	s_mul_i32 s36, s25, s49
	s_mul_hi_u32 s0, s24, s48
	s_mul_hi_u32 s35, s25, s49
	s_add_u32 s34, s36, s34
	s_mul_i32 s38, s27, s50
	s_addc_u32 s0, s35, s0
	s_mul_hi_u32 s37, s27, s50
	s_add_u32 s34, s34, s38
	s_mul_i32 s40, s28, s51
	s_addc_u32 s0, s0, s37
	s_mul_hi_u32 s39, s28, s51
	s_add_u32 s34, s34, s40
	s_mul_i32 s42, s26, s52
	s_addc_u32 s0, s0, s39
	s_mul_hi_u32 s41, s26, s52
	s_add_u32 s34, s34, s42
	s_addc_u32 s0, s0, s41
	s_add_u32 s10, s34, s10
	s_addc_u32 s11, s0, s11
	s_mul_i32 s22, s18, s47
	s_mul_i32 s33, s20, s55
	s_and_b32 s0, s10, 0x3ffffff
	s_lshr_b64 s[10:11], s[10:11], 26
	s_mul_hi_u32 s21, s18, s47
	s_mul_hi_u32 s23, s20, s55
	s_add_u32 s22, s33, s22
	s_mul_i32 s3, s17, s53
	s_addc_u32 s21, s23, s21
	s_mul_hi_u32 s2, s17, s53
	s_add_u32 s3, s22, s3
	s_mul_i32 s12, s16, s54
	s_addc_u32 s2, s21, s2
	s_mul_hi_u32 s5, s16, s54
	s_add_u32 s3, s3, s12
	s_mul_i32 s19, s15, s46
	s_addc_u32 s2, s2, s5
	s_mul_hi_u32 s13, s15, s46
	s_add_u32 s3, s3, s19
	s_addc_u32 s2, s2, s13
	s_add_u32 s3, s3, s8
	s_mul_i32 s35, s0, 0x3d10
	s_addc_u32 s2, s2, s9
	s_mul_hi_u32 s34, s0, 0x3d10
	s_add_u32 s3, s3, s35
	s_addc_u32 s2, s2, s34
	s_add_u32 s6, s3, s6
	s_addc_u32 s7, s2, s7
	s_lshr_b64 s[8:9], s[6:7], 26
	s_lshl_b64 s[12:13], s[0:1], 10
	s_mul_i32 s37, s25, s48
	s_mul_i32 s39, s27, s49
	s_mul_hi_u32 s0, s25, s48
	s_mul_hi_u32 s38, s27, s49
	s_add_u32 s37, s39, s37
	s_mul_i32 s41, s28, s50
	s_addc_u32 s0, s38, s0
	s_mul_hi_u32 s40, s28, s50
	s_add_u32 s37, s37, s41
	s_mul_i32 s43, s26, s51
	s_addc_u32 s0, s0, s40
	s_mul_hi_u32 s42, s26, s51
	s_add_u32 s37, s37, s43
	s_addc_u32 s0, s0, s42
	s_add_u32 s10, s37, s10
	s_addc_u32 s11, s0, s11
	s_mul_i32 s23, s18, s46
	s_mul_i32 s34, s20, s47
	s_and_b32 s0, s10, 0x3ffffff
	s_lshr_b64 s[10:11], s[10:11], 26
	s_mul_hi_u32 s22, s18, s46
	s_mul_hi_u32 s33, s20, s47
	s_add_u32 s23, s34, s23
	s_mul_i32 s36, s24, s55
	s_addc_u32 s22, s33, s22
	s_mul_hi_u32 s35, s24, s55
	s_add_u32 s23, s23, s36
	s_mul_i32 s3, s17, s52
	s_addc_u32 s22, s22, s35
	;; [unrolled: 4-line block ×4, first 2 shown]
	s_mul_hi_u32 s19, s15, s54
	s_add_u32 s3, s3, s21
	s_addc_u32 s2, s2, s19
	s_add_u32 s3, s3, s12
	s_mul_i32 s38, s0, 0x3d10
	s_addc_u32 s2, s2, s13
	s_mul_hi_u32 s37, s0, 0x3d10
	s_add_u32 s3, s3, s38
	s_addc_u32 s2, s2, s37
	s_add_u32 s8, s3, s8
	s_addc_u32 s9, s2, s9
	s_lshr_b64 s[12:13], s[8:9], 26
	s_lshl_b64 s[34:35], s[0:1], 10
	s_mul_i32 s36, s27, s48
	s_mul_i32 s42, s28, s49
	s_mul_hi_u32 s0, s27, s48
	s_mul_hi_u32 s37, s28, s49
	s_add_u32 s36, s42, s36
	s_mul_i32 s44, s26, s50
	s_addc_u32 s0, s37, s0
	s_mul_hi_u32 s43, s26, s50
	s_add_u32 s36, s36, s44
	s_addc_u32 s0, s0, s43
	s_add_u32 s10, s36, s10
	s_addc_u32 s11, s0, s11
	s_mul_i32 s22, s18, s54
	s_mul_i32 s33, s20, s46
	s_and_b32 s0, s10, 0x3ffffff
	s_lshr_b64 s[36:37], s[10:11], 26
	s_mul_hi_u32 s21, s18, s54
	s_mul_hi_u32 s23, s20, s46
	s_add_u32 s22, s33, s22
	s_mul_i32 s39, s24, s47
	s_addc_u32 s21, s23, s21
	s_mul_hi_u32 s38, s24, s47
	s_add_u32 s22, s22, s39
	s_mul_i32 s41, s25, s55
	s_addc_u32 s21, s21, s38
	;; [unrolled: 4-line block ×5, first 2 shown]
	s_mul_hi_u32 s9, s15, s53
	s_add_u32 s3, s3, s19
	s_addc_u32 s2, s2, s9
	s_add_u32 s3, s3, s34
	s_mul_i32 s11, s0, 0x3d10
	s_addc_u32 s2, s2, s35
	s_mul_hi_u32 s10, s0, 0x3d10
	s_add_u32 s3, s3, s11
	s_addc_u32 s2, s2, s10
	s_add_u32 s10, s3, s12
	s_addc_u32 s11, s2, s13
	s_lshr_b64 s[12:13], s[10:11], 26
	s_lshl_b64 s[34:35], s[0:1], 10
	s_mul_i32 s43, s28, s48
	s_mul_i32 s45, s26, s49
	s_mul_hi_u32 s0, s28, s48
	s_mul_hi_u32 s44, s26, s49
	s_add_u32 s43, s45, s43
	s_addc_u32 s0, s44, s0
	s_add_u32 s36, s43, s36
	s_addc_u32 s37, s0, s37
	s_mul_i32 s21, s18, s53
	s_mul_i32 s23, s20, s54
	s_and_b32 s0, s36, 0x3ffffff
	s_lshr_b64 s[36:37], s[36:37], 26
	s_mul_hi_u32 s19, s18, s53
	s_mul_hi_u32 s22, s20, s54
	s_add_u32 s21, s23, s21
	s_mul_i32 s38, s24, s46
	s_addc_u32 s19, s22, s19
	s_mul_hi_u32 s33, s24, s46
	s_add_u32 s21, s21, s38
	s_mul_i32 s40, s25, s47
	s_addc_u32 s19, s19, s33
	;; [unrolled: 4-line block ×6, first 2 shown]
	s_mul_hi_u32 s9, s15, s52
	s_add_u32 s3, s3, s11
	s_addc_u32 s2, s2, s9
	s_add_u32 s3, s3, s34
	s_mul_i32 s44, s0, 0x3d10
	s_addc_u32 s2, s2, s35
	s_mul_hi_u32 s43, s0, 0x3d10
	s_add_u32 s3, s3, s44
	s_addc_u32 s2, s2, s43
	s_add_u32 s12, s3, s12
	s_addc_u32 s13, s2, s13
	s_lshr_b64 s[34:35], s[12:13], 26
	s_lshl_b64 s[38:39], s[0:1], 10
	s_mul_hi_u32 s0, s26, s48
	s_mul_i32 s26, s26, s48
	s_mul_hi_u32 s5, s16, s50
	s_mul_i32 s7, s16, s50
	s_add_u32 s16, s36, s26
	s_mul_hi_u32 s2, s17, s49
	s_mul_i32 s3, s17, s49
	s_addc_u32 s17, s37, s0
	s_mul_hi_u32 s9, s15, s51
	s_mul_i32 s11, s15, s51
	s_mul_hi_u32 s13, s18, s52
	s_mul_i32 s15, s18, s52
	;; [unrolled: 2-line block ×3, first 2 shown]
	s_and_b32 s0, s16, 0x3ffffff
	s_lshr_b64 s[18:19], s[16:17], 26
	s_add_u32 s15, s20, s15
	s_mul_hi_u32 s22, s24, s54
	s_mul_i32 s24, s24, s54
	s_addc_u32 s13, s21, s13
	s_add_u32 s15, s15, s24
	s_mul_hi_u32 s23, s25, s46
	s_mul_i32 s25, s25, s46
	s_addc_u32 s13, s13, s22
	;; [unrolled: 4-line block ×4, first 2 shown]
	s_add_u32 s15, s15, s28
	s_addc_u32 s13, s13, s40
	s_add_u32 s3, s15, s3
	s_addc_u32 s2, s13, s2
	;; [unrolled: 2-line block ×4, first 2 shown]
	s_add_u32 s3, s3, s38
	s_mul_i32 s36, s0, 0x3d10
	s_addc_u32 s2, s2, s39
	s_mul_hi_u32 s26, s0, 0x3d10
	s_add_u32 s3, s3, s36
	s_addc_u32 s5, s2, s26
	v_mov_b32_e32 v0, s16
	s_add_u32 s2, s3, s34
	v_alignbit_b32 v0, s17, v0, 26
	s_addc_u32 s3, s5, s35
	s_lshl_b64 s[22:23], s[0:1], 10
	v_readfirstlane_b32 s0, v0
	s_lshr_b64 s[20:21], s[2:3], 26
	s_mul_hi_u32 s3, s0, 0x3d10
	s_mulk_i32 s0, 0x3d10
	s_add_u32 s0, s0, s14
	s_addc_u32 s3, s3, 0
	s_add_u32 s0, s0, s22
	s_addc_u32 s3, s3, s23
	;; [unrolled: 2-line block ×3, first 2 shown]
	s_lshr_b64 s[14:15], s[24:25], 22
	s_lshl_b64 s[16:17], s[18:19], 14
	s_add_u32 s14, s14, s16
	s_addc_u32 s15, s15, s17
	s_mul_i32 s0, s15, 0x3d1
	s_mul_hi_u32 s3, s14, 0x3d1
	s_add_i32 s3, s3, s0
	s_mul_i32 s0, s14, 0x3d1
	s_add_u32 s16, s0, s29
	s_addc_u32 s17, s3, 0
	s_lshr_b64 s[18:19], s[16:17], 26
	s_lshl_b64 s[14:15], s[14:15], 6
	s_add_u32 s0, s14, s30
	s_addc_u32 s3, s15, 0
	s_add_u32 s14, s0, s18
	s_addc_u32 s15, s3, s19
	s_lshr_b64 s[18:19], s[14:15], 26
	s_add_u32 s13, s18, s31
	s_mov_b32 s18, 5
	v_readlane_b32 s88, v15, 21
	v_readlane_b32 s89, v15, 26
.LBB0_23:                               ; =>This Inner Loop Header: Depth=1
	s_lshl_b32 s19, s16, 1
	s_lshl_b32 s21, s4, 1
	;; [unrolled: 1-line block ×4, first 2 shown]
	s_and_b32 s11, s10, 0x3ffffff
	s_and_b32 s0, s8, 0x3ffffff
	;; [unrolled: 1-line block ×7, first 2 shown]
	s_lshl_b32 s7, s13, 1
	s_and_b32 s5, s12, 0x3ffffff
	s_and_b32 s20, s20, 0x7fffffe
	s_mul_i32 s41, s11, s19
	s_mul_i32 s62, s21, s0
	s_mul_hi_u32 s43, s11, s19
	s_mul_hi_u32 s44, s21, s0
	s_add_u32 s62, s41, s62
	s_mul_i32 s53, s5, s7
	s_addc_u32 s83, s43, s44
	s_mul_hi_u32 s50, s5, s7
	s_mul_hi_u32 s47, s0, s0
	s_mul_i32 s48, s0, s0
	s_mul_hi_u32 s29, s0, s7
	s_mul_i32 s30, s0, s7
	;; [unrolled: 2-line block ×9, first 2 shown]
	s_add_u32 s0, s62, s53
	s_mul_i32 s61, s9, s20
	s_addc_u32 s50, s83, s50
	s_mul_hi_u32 s60, s9, s20
	s_add_u32 s0, s0, s61
	s_mul_i32 s58, s3, s22
	s_addc_u32 s50, s50, s60
	s_mul_hi_u32 s59, s3, s22
	s_add_u32 s58, s0, s58
	s_addc_u32 s59, s50, s59
	s_and_b32 s0, s16, 0x3ffffff
	s_and_b32 s16, s58, 0x3fffffe
	s_lshr_b64 s[58:59], s[58:59], 26
	s_mul_hi_u32 s50, s0, s0
	s_mul_i32 s53, s0, s0
	s_add_u32 s0, s68, s48
	s_mul_i32 s66, s5, s19
	s_addc_u32 s47, s67, s47
	s_mul_hi_u32 s65, s5, s19
	s_add_u32 s0, s0, s66
	s_mul_i32 s45, s9, s7
	s_addc_u32 s47, s47, s65
	s_mul_hi_u32 s42, s9, s7
	;; [unrolled: 4-line block ×3, first 2 shown]
	s_add_u32 s0, s0, s64
	s_addc_u32 s42, s42, s63
	s_add_u32 s58, s0, s58
	s_addc_u32 s59, s42, s59
	s_and_b32 s0, s58, 0x3ffffff
	s_lshr_b64 s[58:59], s[58:59], 26
	s_mul_i32 s45, s0, 0x3d10
	s_mul_hi_u32 s42, s0, 0x3d10
	s_add_u32 s60, s45, s53
	s_addc_u32 s61, s42, s50
	s_lshl_b32 s8, s8, 1
	s_lshl_b64 s[62:63], s[0:1], 10
	s_and_b32 s0, s14, 0x3ffffff
	s_and_b32 s8, s8, 0x7fffffe
	s_mul_hi_u32 s34, s11, s11
	s_mul_i32 s35, s11, s11
	s_mul_hi_u32 s25, s11, s7
	s_mul_i32 s26, s11, s7
	;; [unrolled: 2-line block ×4, first 2 shown]
	s_and_b32 s42, s60, 0x3fffffd
	s_lshr_b64 s[60:61], s[60:61], 26
	s_mul_hi_u32 s14, s22, s0
	s_mul_i32 s45, s22, s0
	s_mul_hi_u32 s47, s0, s0
	s_mul_i32 s48, s0, s0
	;; [unrolled: 2-line block ×3, first 2 shown]
	s_add_u32 s11, s72, s11
	s_mul_i32 s70, s9, s19
	s_addc_u32 s0, s71, s0
	s_mul_hi_u32 s69, s9, s19
	s_add_u32 s11, s11, s70
	s_mul_i32 s39, s3, s7
	s_addc_u32 s0, s0, s69
	s_mul_hi_u32 s38, s3, s7
	s_add_u32 s11, s11, s39
	s_addc_u32 s0, s0, s38
	s_add_u32 s38, s11, s58
	s_addc_u32 s39, s0, s59
	s_and_b32 s0, s38, 0x3ffffff
	s_lshr_b64 s[38:39], s[38:39], 26
	s_add_u32 s45, s62, s45
	s_addc_u32 s14, s63, s14
	s_add_u32 s45, s45, s60
	s_mul_i32 s58, s0, 0x3d10
	s_addc_u32 s14, s14, s61
	s_mul_hi_u32 s11, s0, 0x3d10
	s_add_u32 s58, s45, s58
	s_addc_u32 s59, s14, s11
	s_mul_i32 s53, s5, s8
	s_and_b32 s14, s58, 0x3ffffff
	s_lshl_b64 s[60:61], s[0:1], 10
	s_lshr_b64 s[58:59], s[58:59], 26
	s_mul_hi_u32 s50, s5, s8
	s_add_u32 s0, s53, s35
	s_addc_u32 s11, s50, s34
	s_add_u32 s0, s0, s78
	s_mul_i32 s76, s3, s19
	s_addc_u32 s11, s11, s77
	s_mul_hi_u32 s75, s3, s19
	s_add_u32 s0, s0, s76
	s_addc_u32 s11, s11, s75
	s_add_u32 s34, s0, s38
	s_addc_u32 s35, s11, s39
	s_mul_i32 s74, s13, s22
	s_and_b32 s0, s34, 0x3ffffff
	s_lshr_b64 s[38:39], s[34:35], 26
	s_mul_hi_u32 s73, s13, s22
	s_add_u32 s35, s74, s48
	s_addc_u32 s45, s73, s47
	s_add_u32 s35, s35, s60
	s_mul_i32 s34, s0, 0x3d10
	s_addc_u32 s45, s45, s61
	s_mul_hi_u32 s11, s0, 0x3d10
	s_add_u32 s34, s35, s34
	s_addc_u32 s11, s45, s11
	s_add_u32 s58, s34, s58
	s_addc_u32 s59, s11, s59
	s_lshl_b64 s[60:61], s[0:1], 10
	s_and_b32 s0, s4, 0x3ffffff
	s_lshl_b32 s4, s10, 1
	s_and_b32 s4, s4, 0x7fffffe
	s_mul_hi_u32 s15, s13, s13
	s_mul_i32 s17, s13, s13
	s_mul_hi_u32 s23, s5, s5
	s_mul_i32 s24, s5, s5
	;; [unrolled: 2-line block ×5, first 2 shown]
	s_mul_i32 s65, s9, s8
	s_and_b32 s34, s58, 0x3ffffff
	s_lshr_b64 s[10:11], s[58:59], 26
	s_mul_hi_u32 s35, s0, s22
	s_mul_i32 s45, s0, s22
	s_mul_hi_u32 s47, s0, s20
	s_mul_i32 s48, s0, s20
	;; [unrolled: 2-line block ×5, first 2 shown]
	s_mul_hi_u32 s64, s9, s8
	s_mul_hi_u32 s67, s9, s4
	s_mul_i32 s68, s9, s4
	s_mul_hi_u32 s69, s3, s4
	s_mul_i32 s70, s3, s4
	s_add_u32 s4, s65, s5
	s_addc_u32 s0, s64, s0
	s_add_u32 s4, s4, s82
	s_addc_u32 s0, s0, s81
	;; [unrolled: 2-line block ×3, first 2 shown]
	s_and_b32 s0, s4, 0x3ffffff
	s_lshr_b64 s[38:39], s[4:5], 26
	s_add_u32 s45, s45, s80
	s_addc_u32 s35, s35, s79
	s_add_u32 s45, s45, s60
	s_mul_i32 s5, s0, 0x3d10
	s_addc_u32 s35, s35, s61
	s_mul_hi_u32 s4, s0, 0x3d10
	s_add_u32 s5, s45, s5
	s_addc_u32 s35, s35, s4
	s_add_u32 s4, s5, s10
	s_addc_u32 s5, s35, s11
	s_lshl_b64 s[10:11], s[0:1], 10
	s_and_b32 s0, s6, 0x3ffffff
	s_lshr_b64 s[58:59], s[4:5], 26
	s_mul_hi_u32 s5, s0, s22
	s_mul_i32 s35, s0, s22
	s_mul_hi_u32 s45, s0, s20
	s_mul_i32 s20, s0, s20
	s_mul_hi_u32 s60, s0, s7
	s_mul_i32 s61, s0, s7
	s_mul_hi_u32 s64, s19, s0
	s_mul_i32 s19, s19, s0
	s_mul_hi_u32 s65, s0, s0
	s_mul_i32 s71, s0, s0
	s_add_u32 s0, s68, s24
	s_mul_hi_u32 s66, s3, s8
	s_mul_i32 s8, s3, s8
	s_addc_u32 s6, s67, s23
	s_add_u32 s0, s0, s8
	s_addc_u32 s7, s6, s66
	s_add_u32 s6, s0, s38
	s_addc_u32 s7, s7, s39
	s_mul_hi_u32 s36, s9, s22
	s_mul_i32 s37, s9, s22
	s_and_b32 s0, s6, 0x3ffffff
	s_lshr_b64 s[22:23], s[6:7], 26
	s_add_u32 s8, s48, s17
	s_addc_u32 s15, s47, s15
	s_add_u32 s8, s8, s35
	s_addc_u32 s5, s15, s5
	s_add_u32 s8, s8, s10
	s_mul_i32 s7, s0, 0x3d10
	s_addc_u32 s5, s5, s11
	s_mul_hi_u32 s6, s0, 0x3d10
	s_add_u32 s7, s8, s7
	s_addc_u32 s5, s5, s6
	s_add_u32 s6, s7, s58
	s_addc_u32 s7, s5, s59
	s_lshl_b64 s[10:11], s[0:1], 10
	s_lshl_b32 s0, s12, 1
	s_and_b32 s0, s0, 0x7fffffe
	s_lshr_b64 s[38:39], s[6:7], 26
	s_mul_i32 s7, s0, s9
	s_mul_hi_u32 s5, s0, s9
	s_mul_hi_u32 s12, s3, s0
	s_mul_i32 s15, s3, s0
	s_add_u32 s0, s70, s7
	s_addc_u32 s5, s69, s5
	s_add_u32 s8, s0, s22
	s_mul_hi_u32 s27, s9, s9
	s_mul_i32 s28, s9, s9
	s_addc_u32 s9, s5, s23
	s_and_b32 s0, s8, 0x3ffffff
	s_lshr_b64 s[22:23], s[8:9], 26
	s_add_u32 s8, s20, s53
	s_addc_u32 s9, s45, s50
	s_add_u32 s8, s8, s21
	s_addc_u32 s9, s9, s57
	s_add_u32 s8, s8, s10
	s_mul_i32 s7, s0, 0x3d10
	s_addc_u32 s9, s9, s11
	s_mul_hi_u32 s5, s0, 0x3d10
	s_add_u32 s7, s8, s7
	s_addc_u32 s5, s9, s5
	s_add_u32 s8, s7, s38
	s_addc_u32 s9, s5, s39
	s_lshl_b64 s[10:11], s[0:1], 10
	s_lshr_b64 s[20:21], s[8:9], 26
	s_add_u32 s0, s15, s28
	s_addc_u32 s5, s12, s27
	s_add_u32 s22, s0, s22
	s_addc_u32 s23, s5, s23
	s_and_b32 s0, s22, 0x3ffffff
	s_lshr_b64 s[22:23], s[22:23], 26
	s_add_u32 s9, s61, s63
	s_addc_u32 s12, s60, s62
	s_add_u32 s9, s9, s56
	s_addc_u32 s12, s12, s55
	;; [unrolled: 2-line block ×3, first 2 shown]
	s_add_u32 s9, s9, s10
	s_mul_i32 s7, s0, 0x3d10
	s_addc_u32 s10, s12, s11
	s_mul_hi_u32 s5, s0, 0x3d10
	s_add_u32 s7, s9, s7
	s_addc_u32 s5, s10, s5
	s_add_u32 s10, s7, s20
	s_addc_u32 s11, s5, s21
	s_lshl_b64 s[20:21], s[0:1], 10
	s_lshl_b32 s0, s2, 1
	s_and_b32 s0, s0, 0x7fffffe
	s_lshr_b64 s[38:39], s[10:11], 26
	s_mul_hi_u32 s5, s0, s3
	s_mul_i32 s0, s0, s3
	s_add_u32 s2, s22, s0
	s_mul_hi_u32 s31, s3, s3
	s_mul_i32 s33, s3, s3
	s_addc_u32 s3, s23, s5
	s_and_b32 s0, s2, 0x3ffffff
	s_lshr_b64 s[2:3], s[2:3], 26
	s_add_u32 s9, s30, s19
	s_addc_u32 s11, s29, s64
	s_add_u32 s9, s9, s52
	s_addc_u32 s11, s11, s49
	;; [unrolled: 2-line block ×3, first 2 shown]
	s_add_u32 s9, s9, s20
	s_mul_i32 s7, s0, 0x3d10
	s_addc_u32 s11, s11, s21
	s_mul_hi_u32 s5, s0, 0x3d10
	s_add_u32 s7, s9, s7
	s_addc_u32 s5, s11, s5
	s_add_u32 s12, s7, s38
	s_addc_u32 s13, s5, s39
	s_lshl_b64 s[20:21], s[0:1], 10
	s_lshr_b64 s[22:23], s[12:13], 26
	s_add_u32 s2, s2, s33
	s_addc_u32 s3, s3, s31
	s_and_b32 s0, s2, 0x3ffffff
	v_mov_b32_e32 v0, s2
	s_lshr_b64 s[28:29], s[2:3], 26
	v_alignbit_b32 v0, s3, v0, 26
	s_add_u32 s3, s44, s71
	s_addc_u32 s9, s43, s65
	s_add_u32 s3, s3, s26
	s_addc_u32 s9, s9, s25
	s_add_u32 s3, s3, s41
	s_addc_u32 s9, s9, s40
	s_add_u32 s3, s3, s37
	s_addc_u32 s9, s9, s36
	s_add_u32 s3, s3, s20
	s_mul_i32 s5, s0, 0x3d10
	s_addc_u32 s9, s9, s21
	s_mul_hi_u32 s2, s0, 0x3d10
	s_add_u32 s3, s3, s5
	s_addc_u32 s5, s9, s2
	s_add_u32 s2, s3, s22
	v_readfirstlane_b32 s7, v0
	s_addc_u32 s3, s5, s23
	s_mul_hi_u32 s11, s7, 0x3d10
	s_mulk_i32 s7, 0x3d10
	s_lshl_b64 s[20:21], s[0:1], 10
	s_lshr_b64 s[22:23], s[2:3], 26
	s_add_u32 s0, s7, s16
	s_addc_u32 s3, s11, 0
	s_add_u32 s0, s0, s20
	s_addc_u32 s3, s3, s21
	;; [unrolled: 2-line block ×3, first 2 shown]
	s_lshl_b64 s[16:17], s[28:29], 14
	s_lshr_b64 s[20:21], s[24:25], 22
	s_add_u32 s20, s20, s16
	s_addc_u32 s21, s21, s17
	s_mul_hi_u32 s0, s20, 0x3d1
	s_mul_i32 s5, s21, 0x3d1
	s_mul_i32 s3, s20, 0x3d1
	s_add_i32 s0, s0, s5
	s_add_u32 s16, s3, s42
	s_addc_u32 s17, s0, 0
	s_lshl_b64 s[20:21], s[20:21], 6
	s_lshr_b64 s[22:23], s[16:17], 26
	s_add_u32 s0, s20, s14
	s_addc_u32 s3, s21, 0
	s_add_u32 s14, s0, s22
	s_addc_u32 s15, s3, s23
	s_lshr_b64 s[20:21], s[14:15], 26
	s_add_i32 s18, s18, -1
	s_add_u32 s13, s20, s34
	s_cmp_lg_u32 s18, 0
	s_cbranch_scc1 .LBB0_23
; %bb.24:
	s_and_b32 s17, s4, 0x3ffffff
	v_readlane_b32 s46, v15, 17
	s_and_b32 s18, s6, 0x3ffffff
	s_and_b32 s15, s16, 0x3ffffff
	;; [unrolled: 1-line block ×3, first 2 shown]
	s_mul_i32 s11, s17, s46
	s_mul_i32 s14, s18, s94
	s_and_b32 s19, s8, 0x3ffffff
	s_and_b32 s20, s10, 0x3ffffff
	;; [unrolled: 1-line block ×5, first 2 shown]
	s_mul_hi_u32 s4, s17, s46
	s_mul_hi_u32 s6, s18, s94
	s_add_u32 s11, s14, s11
	s_mul_i32 s21, s19, s93
	s_addc_u32 s4, s6, s4
	s_mul_hi_u32 s8, s19, s93
	s_add_u32 s6, s11, s21
	s_mul_i32 s25, s20, s89
	s_addc_u32 s4, s4, s8
	v_readlane_b32 s86, v15, 22
	s_mul_hi_u32 s10, s20, s89
	s_add_u32 s6, s6, s25
	v_readlane_b32 s87, v15, 23
	s_mul_i32 s27, s12, s92
	s_addc_u32 s4, s4, s10
	s_mul_hi_u32 s26, s12, s92
	v_readlane_b32 s87, v15, 20
	s_add_u32 s6, s6, s27
	s_mul_i32 s28, s22, s87
	s_addc_u32 s4, s4, s26
	s_mul_hi_u32 s2, s22, s87
	s_add_u32 s6, s6, s28
	s_mul_i32 s29, s23, s88
	s_addc_u32 s2, s4, s2
	s_mul_hi_u32 s24, s23, s88
	;; [unrolled: 4-line block ×3, first 2 shown]
	v_readlane_b32 s85, v15, 15
	s_add_u32 s1, s4, s1
	s_mul_i32 s5, s16, s85
	s_addc_u32 s0, s2, s0
	s_mul_hi_u32 s3, s16, s85
	v_readlane_b32 s47, v15, 16
	s_add_u32 s1, s1, s5
	s_mul_i32 s9, s13, s47
	s_addc_u32 s0, s0, s3
	s_mul_hi_u32 s7, s13, s47
	s_add_u32 s2, s1, s9
	s_addc_u32 s3, s0, s7
	s_and_b32 s14, s2, 0x3ffffff
	s_lshr_b64 s[2:3], s[2:3], 26
	s_mul_i32 s10, s17, s47
	s_mul_i32 s21, s18, s46
	s_mul_hi_u32 s9, s17, s47
	s_mul_hi_u32 s11, s18, s46
	s_add_u32 s10, s21, s10
	s_mul_i32 s25, s19, s94
	s_addc_u32 s9, s11, s9
	s_mul_hi_u32 s24, s19, s94
	s_add_u32 s10, s10, s25
	s_mul_i32 s27, s20, s93
	s_addc_u32 s9, s9, s24
	;; [unrolled: 4-line block ×7, first 2 shown]
	s_mul_hi_u32 s7, s13, s85
	s_add_u32 s6, s6, s8
	s_addc_u32 s0, s0, s7
	s_add_u32 s2, s6, s2
	s_addc_u32 s3, s0, s3
	s_and_b32 s0, s2, 0x3ffffff
	s_mul_i32 s4, s15, s88
	s_lshr_b64 s[2:3], s[2:3], 26
	s_mul_i32 s7, s0, 0x3d10
	s_mul_hi_u32 s5, s15, s88
	s_mul_hi_u32 s6, s0, 0x3d10
	s_add_u32 s4, s7, s4
	s_mov_b32 s1, 0
	s_addc_u32 s5, s6, s5
	s_and_b32 s26, s4, 0x3ffffff
	s_lshr_b64 s[4:5], s[4:5], 26
	s_lshl_b64 s[6:7], s[0:1], 10
	s_mul_i32 s25, s17, s85
	s_mul_i32 s28, s18, s47
	s_mul_hi_u32 s24, s17, s85
	s_mul_hi_u32 s27, s18, s47
	s_add_u32 s25, s28, s25
	s_mul_i32 s30, s19, s46
	s_addc_u32 s24, s27, s24
	s_mul_hi_u32 s29, s19, s46
	s_add_u32 s25, s25, s30
	s_mul_i32 s33, s20, s94
	s_addc_u32 s24, s24, s29
	;; [unrolled: 4-line block ×6, first 2 shown]
	s_mul_hi_u32 s0, s13, s86
	s_add_u32 s21, s25, s21
	s_addc_u32 s0, s24, s0
	s_add_u32 s2, s21, s2
	s_addc_u32 s3, s0, s3
	s_mul_i32 s9, s15, s87
	s_mul_i32 s11, s16, s88
	s_and_b32 s0, s2, 0x3ffffff
	s_lshr_b64 s[2:3], s[2:3], 26
	s_mul_hi_u32 s8, s15, s87
	s_mul_hi_u32 s10, s16, s88
	s_add_u32 s9, s11, s9
	s_addc_u32 s8, s10, s8
	s_add_u32 s6, s9, s6
	s_addc_u32 s7, s8, s7
	s_add_u32 s4, s6, s4
	s_mul_i32 s24, s0, 0x3d10
	s_addc_u32 s5, s7, s5
	s_mul_hi_u32 s21, s0, 0x3d10
	s_add_u32 s4, s4, s24
	s_addc_u32 s5, s5, s21
	s_and_b32 s27, s4, 0x3ffffff
	s_lshr_b64 s[4:5], s[4:5], 26
	s_lshl_b64 s[6:7], s[0:1], 10
	s_mul_i32 s25, s17, s86
	s_mul_i32 s29, s18, s85
	s_mul_hi_u32 s0, s17, s86
	s_mul_hi_u32 s28, s18, s85
	s_add_u32 s25, s29, s25
	s_mul_i32 s31, s19, s47
	s_addc_u32 s0, s28, s0
	s_mul_hi_u32 s30, s19, s47
	s_add_u32 s25, s25, s31
	s_mul_i32 s34, s20, s46
	s_addc_u32 s0, s0, s30
	;; [unrolled: 4-line block ×5, first 2 shown]
	s_mul_hi_u32 s39, s23, s89
	s_add_u32 s25, s25, s40
	s_addc_u32 s0, s0, s39
	s_add_u32 s2, s25, s2
	s_addc_u32 s3, s0, s3
	s_mul_i32 s9, s15, s92
	s_mul_i32 s11, s16, s87
	s_and_b32 s0, s2, 0x3ffffff
	s_lshr_b64 s[2:3], s[2:3], 26
	s_mul_hi_u32 s8, s15, s92
	s_mul_hi_u32 s10, s16, s87
	s_add_u32 s9, s11, s9
	s_mul_i32 s24, s13, s88
	s_addc_u32 s8, s10, s8
	s_mul_hi_u32 s21, s13, s88
	s_add_u32 s9, s9, s24
	s_addc_u32 s8, s8, s21
	s_add_u32 s6, s9, s6
	s_mul_i32 s28, s0, 0x3d10
	s_addc_u32 s7, s8, s7
	s_mul_hi_u32 s25, s0, 0x3d10
	s_add_u32 s6, s6, s28
	s_addc_u32 s7, s7, s25
	s_add_u32 s4, s6, s4
	s_addc_u32 s5, s7, s5
	s_and_b32 s28, s4, 0x3ffffff
	s_lshr_b64 s[4:5], s[4:5], 26
	s_lshl_b64 s[6:7], s[0:1], 10
	s_mul_i32 s8, s18, s86
	s_mul_i32 s33, s19, s85
	s_mul_hi_u32 s0, s18, s86
	s_mul_hi_u32 s9, s19, s85
	s_add_u32 s8, s33, s8
	s_mul_i32 s35, s20, s47
	s_addc_u32 s0, s9, s0
	s_mul_hi_u32 s34, s20, s47
	s_add_u32 s8, s8, s35
	s_mul_i32 s37, s12, s46
	s_addc_u32 s0, s0, s34
	;; [unrolled: 4-line block ×4, first 2 shown]
	s_mul_hi_u32 s40, s23, s93
	s_add_u32 s8, s8, s41
	s_addc_u32 s0, s0, s40
	s_add_u32 s2, s8, s2
	s_addc_u32 s3, s0, s3
	s_mul_i32 s11, s15, s89
	s_mul_i32 s31, s17, s88
	s_and_b32 s0, s2, 0x3ffffff
	s_lshr_b64 s[8:9], s[2:3], 26
	s_mul_hi_u32 s10, s15, s89
	s_mul_hi_u32 s30, s17, s88
	s_add_u32 s11, s11, s31
	s_mul_i32 s24, s16, s92
	s_addc_u32 s10, s10, s30
	s_mul_hi_u32 s21, s16, s92
	s_add_u32 s11, s11, s24
	s_mul_i32 s29, s13, s87
	s_addc_u32 s10, s10, s21
	s_mul_hi_u32 s25, s13, s87
	s_add_u32 s11, s11, s29
	s_addc_u32 s10, s10, s25
	s_add_u32 s6, s11, s6
	s_mul_i32 s3, s0, 0x3d10
	s_addc_u32 s7, s10, s7
	s_mul_hi_u32 s2, s0, 0x3d10
	s_add_u32 s3, s6, s3
	s_addc_u32 s6, s7, s2
	s_add_u32 s2, s3, s4
	s_addc_u32 s3, s6, s5
	s_lshr_b64 s[4:5], s[2:3], 26
	s_lshl_b64 s[6:7], s[0:1], 10
	s_mul_i32 s34, s19, s86
	s_mul_i32 s36, s20, s85
	s_mul_hi_u32 s0, s19, s86
	s_mul_hi_u32 s35, s20, s85
	s_add_u32 s34, s36, s34
	s_mul_i32 s38, s12, s47
	s_addc_u32 s0, s35, s0
	s_mul_hi_u32 s37, s12, s47
	s_add_u32 s34, s34, s38
	s_mul_i32 s40, s22, s46
	s_addc_u32 s0, s0, s37
	;; [unrolled: 4-line block ×3, first 2 shown]
	s_mul_hi_u32 s41, s23, s94
	s_add_u32 s34, s34, s42
	s_addc_u32 s0, s0, s41
	s_add_u32 s8, s34, s8
	s_addc_u32 s9, s0, s9
	s_mul_i32 s30, s17, s87
	s_mul_i32 s33, s18, s88
	s_and_b32 s0, s8, 0x3ffffff
	s_lshr_b64 s[8:9], s[8:9], 26
	s_mul_hi_u32 s29, s17, s87
	s_mul_hi_u32 s31, s18, s88
	s_add_u32 s30, s33, s30
	s_mul_i32 s10, s15, s93
	s_addc_u32 s29, s31, s29
	s_mul_hi_u32 s3, s15, s93
	s_add_u32 s10, s30, s10
	s_mul_i32 s21, s16, s89
	s_addc_u32 s3, s29, s3
	;; [unrolled: 4-line block ×3, first 2 shown]
	s_mul_hi_u32 s24, s13, s92
	s_add_u32 s10, s10, s25
	s_addc_u32 s3, s3, s24
	s_add_u32 s6, s10, s6
	s_mul_i32 s35, s0, 0x3d10
	s_addc_u32 s3, s3, s7
	s_mul_hi_u32 s34, s0, 0x3d10
	s_add_u32 s6, s6, s35
	s_addc_u32 s3, s3, s34
	s_add_u32 s4, s6, s4
	s_addc_u32 s5, s3, s5
	s_lshr_b64 s[6:7], s[4:5], 26
	s_lshl_b64 s[10:11], s[0:1], 10
	s_mul_i32 s37, s20, s86
	s_mul_i32 s39, s12, s85
	s_mul_hi_u32 s0, s20, s86
	s_mul_hi_u32 s38, s12, s85
	s_add_u32 s37, s39, s37
	s_mul_i32 s41, s22, s47
	s_addc_u32 s0, s38, s0
	s_mul_hi_u32 s40, s22, s47
	s_add_u32 s37, s37, s41
	s_mul_i32 s43, s23, s46
	s_addc_u32 s0, s0, s40
	s_mul_hi_u32 s42, s23, s46
	s_add_u32 s37, s37, s43
	s_addc_u32 s0, s0, s42
	s_add_u32 s8, s37, s8
	s_addc_u32 s9, s0, s9
	s_mul_i32 s31, s17, s92
	s_mul_i32 s34, s18, s87
	s_and_b32 s0, s8, 0x3ffffff
	s_lshr_b64 s[8:9], s[8:9], 26
	s_mul_hi_u32 s30, s17, s92
	s_mul_hi_u32 s33, s18, s87
	s_add_u32 s31, s34, s31
	s_mul_i32 s36, s19, s88
	s_addc_u32 s30, s33, s30
	s_mul_hi_u32 s35, s19, s88
	s_add_u32 s31, s31, s36
	s_mul_i32 s5, s15, s94
	s_addc_u32 s30, s30, s35
	;; [unrolled: 4-line block ×4, first 2 shown]
	s_mul_hi_u32 s25, s13, s89
	s_add_u32 s5, s5, s29
	s_addc_u32 s3, s3, s25
	s_add_u32 s5, s5, s10
	s_mul_i32 s38, s0, 0x3d10
	s_addc_u32 s3, s3, s11
	s_mul_hi_u32 s37, s0, 0x3d10
	s_add_u32 s5, s5, s38
	s_addc_u32 s3, s3, s37
	s_add_u32 s6, s5, s6
	s_addc_u32 s7, s3, s7
	s_lshr_b64 s[10:11], s[6:7], 26
	s_lshl_b64 s[24:25], s[0:1], 10
	s_mul_i32 s30, s12, s86
	s_mul_i32 s42, s22, s85
	s_mul_hi_u32 s0, s12, s86
	s_mul_hi_u32 s31, s22, s85
	s_add_u32 s30, s42, s30
	s_mul_i32 s44, s23, s47
	s_addc_u32 s0, s31, s0
	s_mul_hi_u32 s43, s23, s47
	s_add_u32 s30, s30, s44
	s_addc_u32 s0, s0, s43
	s_add_u32 s8, s30, s8
	s_addc_u32 s9, s0, s9
	s_mul_i32 s35, s17, s89
	s_mul_i32 s37, s18, s92
	s_and_b32 s0, s8, 0x3ffffff
	s_lshr_b64 s[30:31], s[8:9], 26
	s_mul_hi_u32 s34, s17, s89
	s_mul_hi_u32 s36, s18, s92
	s_add_u32 s35, s37, s35
	s_mul_i32 s39, s19, s87
	s_addc_u32 s34, s36, s34
	s_mul_hi_u32 s38, s19, s87
	s_add_u32 s35, s35, s39
	s_mul_i32 s41, s20, s88
	s_addc_u32 s34, s34, s38
	;; [unrolled: 4-line block ×5, first 2 shown]
	s_mul_hi_u32 s29, s13, s93
	s_add_u32 s5, s5, s33
	s_addc_u32 s3, s3, s29
	s_add_u32 s5, s5, s24
	s_mul_i32 s9, s0, 0x3d10
	s_addc_u32 s3, s3, s25
	s_mul_hi_u32 s8, s0, 0x3d10
	s_add_u32 s5, s5, s9
	s_addc_u32 s3, s3, s8
	s_add_u32 s8, s5, s10
	s_addc_u32 s9, s3, s11
	s_lshr_b64 s[10:11], s[8:9], 26
	s_lshl_b64 s[24:25], s[0:1], 10
	s_mul_i32 s43, s22, s86
	s_mul_i32 s45, s23, s85
	s_mul_hi_u32 s0, s22, s86
	s_mul_hi_u32 s44, s23, s85
	s_add_u32 s43, s45, s43
	s_addc_u32 s0, s44, s0
	s_add_u32 s30, s43, s30
	s_addc_u32 s31, s0, s31
	s_mul_i32 s34, s17, s93
	s_mul_i32 s36, s18, s89
	s_and_b32 s0, s30, 0x3ffffff
	s_lshr_b64 s[30:31], s[30:31], 26
	s_mul_hi_u32 s33, s17, s93
	s_mul_hi_u32 s35, s18, s89
	s_add_u32 s34, s36, s34
	s_mul_i32 s38, s19, s92
	s_addc_u32 s33, s35, s33
	s_mul_hi_u32 s37, s19, s92
	s_add_u32 s34, s34, s38
	s_mul_i32 s40, s20, s87
	s_addc_u32 s33, s33, s37
	;; [unrolled: 4-line block ×6, first 2 shown]
	s_mul_hi_u32 s21, s13, s94
	s_add_u32 s5, s5, s29
	s_addc_u32 s3, s3, s21
	s_add_u32 s5, s5, s24
	s_mul_i32 s44, s0, 0x3d10
	s_addc_u32 s3, s3, s25
	s_mul_hi_u32 s43, s0, 0x3d10
	s_add_u32 s5, s5, s44
	s_addc_u32 s3, s3, s43
	s_add_u32 s10, s5, s10
	s_addc_u32 s11, s3, s11
	s_lshr_b64 s[24:25], s[10:11], 26
	s_lshl_b64 s[34:35], s[0:1], 10
	s_mul_hi_u32 s0, s23, s86
	s_mul_i32 s23, s23, s86
	s_mul_hi_u32 s5, s16, s47
	s_mul_i32 s7, s16, s47
	s_add_u32 s16, s30, s23
	s_mul_hi_u32 s9, s13, s46
	s_mul_i32 s11, s13, s46
	s_mul_hi_u32 s13, s17, s94
	s_mul_i32 s21, s17, s94
	s_addc_u32 s17, s31, s0
	s_mul_hi_u32 s29, s18, s93
	s_mul_i32 s33, s18, s93
	s_mul_hi_u32 s36, s19, s89
	s_mul_i32 s37, s19, s89
	s_and_b32 s0, s16, 0x3ffffff
	s_lshr_b64 s[18:19], s[16:17], 26
	s_add_u32 s21, s33, s21
	s_addc_u32 s13, s29, s13
	s_add_u32 s21, s21, s37
	s_mul_hi_u32 s38, s20, s92
	s_mul_i32 s20, s20, s92
	s_addc_u32 s13, s13, s36
	s_add_u32 s20, s21, s20
	s_mul_hi_u32 s39, s12, s87
	s_mul_i32 s12, s12, s87
	;; [unrolled: 4-line block ×4, first 2 shown]
	s_addc_u32 s13, s13, s40
	s_add_u32 s12, s12, s15
	s_addc_u32 s3, s13, s3
	s_add_u32 s7, s12, s7
	;; [unrolled: 2-line block ×4, first 2 shown]
	s_mul_i32 s30, s0, 0x3d10
	s_addc_u32 s3, s3, s35
	s_mul_hi_u32 s23, s0, 0x3d10
	s_add_u32 s5, s5, s30
	s_addc_u32 s3, s3, s23
	v_mov_b32_e32 v0, s16
	s_add_u32 s12, s5, s24
	v_alignbit_b32 v0, s17, v0, 26
	s_addc_u32 s13, s3, s25
	s_lshl_b64 s[22:23], s[0:1], 10
	v_readfirstlane_b32 s0, v0
	s_lshr_b64 s[20:21], s[12:13], 26
	s_mul_hi_u32 s3, s0, 0x3d10
	s_mulk_i32 s0, 0x3d10
	s_add_u32 s0, s0, s14
	s_addc_u32 s3, s3, 0
	s_add_u32 s0, s0, s22
	s_addc_u32 s3, s3, s23
	;; [unrolled: 2-line block ×3, first 2 shown]
	s_lshr_b64 s[14:15], s[24:25], 22
	s_lshl_b64 s[16:17], s[18:19], 14
	s_add_u32 s14, s14, s16
	s_addc_u32 s15, s15, s17
	s_mul_i32 s0, s15, 0x3d1
	s_mul_hi_u32 s3, s14, 0x3d1
	s_add_i32 s3, s3, s0
	s_mul_i32 s0, s14, 0x3d1
	s_add_u32 s16, s0, s26
	s_addc_u32 s17, s3, 0
	s_lshr_b64 s[18:19], s[16:17], 26
	s_lshl_b64 s[14:15], s[14:15], 6
	s_add_u32 s0, s14, s27
	s_addc_u32 s3, s15, 0
	s_add_u32 s14, s0, s18
	s_addc_u32 s15, s3, s19
	s_lshr_b64 s[18:19], s[14:15], 26
	s_add_u32 s13, s18, s28
	s_mov_b32 s18, 3
.LBB0_25:                               ; =>This Inner Loop Header: Depth=1
	s_lshl_b32 s19, s16, 1
	s_lshl_b32 s21, s2, 1
	;; [unrolled: 1-line block ×4, first 2 shown]
	s_and_b32 s9, s8, 0x3ffffff
	s_and_b32 s0, s6, 0x3ffffff
	;; [unrolled: 1-line block ×7, first 2 shown]
	s_lshl_b32 s5, s13, 1
	s_and_b32 s3, s10, 0x3ffffff
	s_and_b32 s20, s20, 0x7fffffe
	s_mul_i32 s40, s9, s19
	s_mul_i32 s62, s21, s0
	s_mul_hi_u32 s42, s9, s19
	s_mul_hi_u32 s43, s21, s0
	s_add_u32 s62, s40, s62
	s_mul_i32 s53, s3, s5
	s_addc_u32 s83, s42, s43
	s_mul_hi_u32 s50, s3, s5
	s_mul_hi_u32 s47, s0, s0
	s_mul_i32 s48, s0, s0
	s_mul_hi_u32 s29, s0, s5
	s_mul_i32 s30, s0, s5
	;; [unrolled: 2-line block ×9, first 2 shown]
	s_add_u32 s0, s62, s53
	s_mul_i32 s61, s7, s20
	s_addc_u32 s50, s83, s50
	s_mul_hi_u32 s60, s7, s20
	s_add_u32 s0, s0, s61
	s_mul_i32 s58, s11, s22
	s_addc_u32 s50, s50, s60
	s_mul_hi_u32 s59, s11, s22
	s_add_u32 s58, s0, s58
	s_addc_u32 s59, s50, s59
	s_and_b32 s0, s16, 0x3ffffff
	s_and_b32 s16, s58, 0x3fffffe
	s_lshr_b64 s[58:59], s[58:59], 26
	s_mul_hi_u32 s50, s0, s0
	s_mul_i32 s53, s0, s0
	s_add_u32 s0, s68, s48
	s_mul_i32 s66, s3, s19
	s_addc_u32 s47, s67, s47
	s_mul_hi_u32 s65, s3, s19
	s_add_u32 s0, s0, s66
	s_mul_i32 s45, s7, s5
	s_addc_u32 s47, s47, s65
	s_mul_hi_u32 s41, s7, s5
	;; [unrolled: 4-line block ×3, first 2 shown]
	s_add_u32 s0, s0, s64
	s_addc_u32 s41, s41, s63
	s_add_u32 s58, s0, s58
	s_addc_u32 s59, s41, s59
	s_and_b32 s0, s58, 0x3ffffff
	s_lshr_b64 s[58:59], s[58:59], 26
	s_mul_i32 s45, s0, 0x3d10
	s_mul_hi_u32 s41, s0, 0x3d10
	s_add_u32 s60, s45, s53
	s_addc_u32 s61, s41, s50
	s_lshl_b32 s6, s6, 1
	s_lshl_b64 s[62:63], s[0:1], 10
	s_and_b32 s0, s14, 0x3ffffff
	s_and_b32 s6, s6, 0x7fffffe
	s_mul_hi_u32 s34, s9, s9
	s_mul_i32 s35, s9, s9
	s_mul_hi_u32 s25, s9, s5
	s_mul_i32 s26, s9, s5
	;; [unrolled: 2-line block ×4, first 2 shown]
	s_and_b32 s41, s60, 0x3fffffd
	s_lshr_b64 s[60:61], s[60:61], 26
	s_mul_hi_u32 s14, s22, s0
	s_mul_i32 s45, s22, s0
	s_mul_hi_u32 s47, s0, s0
	s_mul_i32 s48, s0, s0
	;; [unrolled: 2-line block ×3, first 2 shown]
	s_add_u32 s9, s72, s9
	s_mul_i32 s70, s7, s19
	s_addc_u32 s0, s71, s0
	s_mul_hi_u32 s69, s7, s19
	s_add_u32 s9, s9, s70
	s_mul_i32 s38, s11, s5
	s_addc_u32 s0, s0, s69
	s_mul_hi_u32 s37, s11, s5
	s_add_u32 s9, s9, s38
	s_addc_u32 s0, s0, s37
	s_add_u32 s58, s9, s58
	s_addc_u32 s59, s0, s59
	s_and_b32 s0, s58, 0x3ffffff
	s_lshr_b64 s[58:59], s[58:59], 26
	s_add_u32 s38, s62, s45
	s_addc_u32 s14, s63, s14
	s_add_u32 s38, s38, s60
	s_mul_i32 s37, s0, 0x3d10
	s_addc_u32 s14, s14, s61
	s_mul_hi_u32 s9, s0, 0x3d10
	s_add_u32 s60, s38, s37
	s_addc_u32 s61, s14, s9
	s_mul_i32 s53, s3, s6
	s_and_b32 s14, s60, 0x3ffffff
	s_lshl_b64 s[62:63], s[0:1], 10
	s_lshr_b64 s[60:61], s[60:61], 26
	s_mul_hi_u32 s50, s3, s6
	s_add_u32 s0, s53, s35
	s_addc_u32 s9, s50, s34
	s_add_u32 s0, s0, s78
	s_mul_i32 s76, s11, s19
	s_addc_u32 s9, s9, s77
	s_mul_hi_u32 s75, s11, s19
	s_add_u32 s0, s0, s76
	s_addc_u32 s9, s9, s75
	s_add_u32 s34, s0, s58
	s_addc_u32 s35, s9, s59
	s_mul_i32 s74, s13, s22
	s_and_b32 s0, s34, 0x3ffffff
	s_lshr_b64 s[58:59], s[34:35], 26
	s_mul_hi_u32 s73, s13, s22
	s_add_u32 s35, s74, s48
	s_addc_u32 s37, s73, s47
	s_add_u32 s35, s35, s62
	s_mul_i32 s34, s0, 0x3d10
	s_addc_u32 s37, s37, s63
	s_mul_hi_u32 s9, s0, 0x3d10
	s_add_u32 s34, s35, s34
	s_addc_u32 s9, s37, s9
	s_add_u32 s60, s34, s60
	s_addc_u32 s61, s9, s61
	s_lshl_b64 s[62:63], s[0:1], 10
	s_and_b32 s0, s2, 0x3ffffff
	s_lshl_b32 s2, s8, 1
	s_and_b32 s2, s2, 0x7fffffe
	s_mul_hi_u32 s23, s3, s3
	s_mul_i32 s24, s3, s3
	s_mul_hi_u32 s44, s3, s22
	s_mul_i32 s46, s3, s22
	;; [unrolled: 2-line block ×3, first 2 shown]
	s_mul_i32 s65, s7, s6
	s_and_b32 s34, s60, 0x3ffffff
	s_lshr_b64 s[8:9], s[60:61], 26
	s_mul_hi_u32 s35, s0, s22
	s_mul_i32 s37, s0, s22
	s_mul_hi_u32 s38, s0, s20
	s_mul_i32 s45, s0, s20
	;; [unrolled: 2-line block ×5, first 2 shown]
	s_mul_hi_u32 s64, s7, s6
	s_mul_hi_u32 s67, s7, s2
	s_mul_i32 s68, s7, s2
	s_mul_hi_u32 s69, s11, s2
	s_mul_i32 s70, s11, s2
	s_add_u32 s2, s65, s3
	s_addc_u32 s0, s64, s0
	s_add_u32 s2, s2, s82
	s_addc_u32 s0, s0, s81
	;; [unrolled: 2-line block ×3, first 2 shown]
	s_mul_i32 s80, s20, s13
	s_and_b32 s0, s2, 0x3ffffff
	s_lshr_b64 s[58:59], s[2:3], 26
	s_mul_hi_u32 s79, s20, s13
	s_add_u32 s37, s37, s80
	s_addc_u32 s35, s35, s79
	s_add_u32 s37, s37, s62
	s_mul_i32 s3, s0, 0x3d10
	s_addc_u32 s35, s35, s63
	s_mul_hi_u32 s2, s0, 0x3d10
	s_add_u32 s3, s37, s3
	s_addc_u32 s35, s35, s2
	s_add_u32 s2, s3, s8
	s_addc_u32 s3, s35, s9
	s_lshl_b64 s[8:9], s[0:1], 10
	s_and_b32 s0, s4, 0x3ffffff
	s_lshr_b64 s[60:61], s[2:3], 26
	s_mul_hi_u32 s3, s0, s22
	s_mul_i32 s35, s0, s22
	s_mul_hi_u32 s37, s0, s20
	s_mul_i32 s20, s0, s20
	;; [unrolled: 2-line block ×5, first 2 shown]
	s_add_u32 s0, s68, s24
	s_mul_hi_u32 s66, s11, s6
	s_mul_i32 s6, s11, s6
	s_addc_u32 s4, s67, s23
	s_add_u32 s0, s0, s6
	s_addc_u32 s5, s4, s66
	s_add_u32 s4, s0, s58
	s_addc_u32 s5, s5, s59
	s_mul_hi_u32 s15, s13, s13
	s_mul_i32 s17, s13, s13
	s_mul_hi_u32 s13, s7, s22
	s_mul_i32 s36, s7, s22
	s_and_b32 s0, s4, 0x3ffffff
	s_lshr_b64 s[22:23], s[4:5], 26
	s_add_u32 s6, s45, s17
	s_addc_u32 s15, s38, s15
	s_add_u32 s6, s6, s35
	s_addc_u32 s3, s15, s3
	s_add_u32 s6, s6, s8
	s_mul_i32 s5, s0, 0x3d10
	s_addc_u32 s3, s3, s9
	s_mul_hi_u32 s4, s0, 0x3d10
	s_add_u32 s5, s6, s5
	s_addc_u32 s3, s3, s4
	s_add_u32 s4, s5, s60
	s_addc_u32 s5, s3, s61
	s_lshl_b64 s[8:9], s[0:1], 10
	s_lshl_b32 s0, s10, 1
	s_and_b32 s0, s0, 0x7fffffe
	s_lshr_b64 s[58:59], s[4:5], 26
	s_mul_i32 s5, s0, s7
	s_mul_hi_u32 s3, s0, s7
	s_mul_hi_u32 s10, s11, s0
	s_mul_i32 s15, s11, s0
	s_add_u32 s0, s70, s5
	s_addc_u32 s3, s69, s3
	s_add_u32 s6, s0, s22
	s_mul_hi_u32 s27, s7, s7
	s_mul_i32 s28, s7, s7
	s_addc_u32 s7, s3, s23
	s_and_b32 s0, s6, 0x3ffffff
	s_lshr_b64 s[22:23], s[6:7], 26
	s_add_u32 s6, s20, s48
	s_addc_u32 s7, s37, s47
	s_add_u32 s6, s6, s21
	s_addc_u32 s7, s7, s57
	s_add_u32 s6, s6, s8
	s_mul_i32 s5, s0, 0x3d10
	s_addc_u32 s7, s7, s9
	s_mul_hi_u32 s3, s0, 0x3d10
	s_add_u32 s5, s6, s5
	s_addc_u32 s3, s7, s3
	s_add_u32 s6, s5, s58
	s_addc_u32 s7, s3, s59
	s_lshl_b64 s[8:9], s[0:1], 10
	s_lshr_b64 s[20:21], s[6:7], 26
	s_add_u32 s0, s15, s28
	s_addc_u32 s3, s10, s27
	s_add_u32 s22, s0, s22
	s_addc_u32 s23, s3, s23
	s_and_b32 s0, s22, 0x3ffffff
	s_lshr_b64 s[22:23], s[22:23], 26
	s_add_u32 s7, s63, s53
	s_addc_u32 s10, s62, s50
	s_add_u32 s7, s7, s56
	s_addc_u32 s10, s10, s55
	;; [unrolled: 2-line block ×3, first 2 shown]
	s_add_u32 s7, s7, s8
	s_mul_i32 s5, s0, 0x3d10
	s_addc_u32 s8, s10, s9
	s_mul_hi_u32 s3, s0, 0x3d10
	s_add_u32 s5, s7, s5
	s_addc_u32 s3, s8, s3
	s_add_u32 s8, s5, s20
	s_addc_u32 s9, s3, s21
	s_lshl_b64 s[20:21], s[0:1], 10
	s_lshl_b32 s0, s12, 1
	s_and_b32 s0, s0, 0x7fffffe
	s_lshr_b64 s[50:51], s[8:9], 26
	s_mul_hi_u32 s3, s0, s11
	s_mul_i32 s0, s0, s11
	s_add_u32 s10, s22, s0
	s_mul_hi_u32 s31, s11, s11
	s_mul_i32 s33, s11, s11
	s_addc_u32 s11, s23, s3
	s_and_b32 s0, s10, 0x3ffffff
	s_lshr_b64 s[22:23], s[10:11], 26
	s_add_u32 s7, s30, s19
	s_addc_u32 s9, s29, s64
	s_add_u32 s7, s7, s52
	s_addc_u32 s9, s9, s49
	;; [unrolled: 2-line block ×3, first 2 shown]
	s_add_u32 s7, s7, s20
	s_mul_i32 s5, s0, 0x3d10
	s_addc_u32 s9, s9, s21
	s_mul_hi_u32 s3, s0, 0x3d10
	s_add_u32 s5, s7, s5
	s_addc_u32 s3, s9, s3
	s_add_u32 s10, s5, s50
	s_addc_u32 s11, s3, s51
	s_lshl_b64 s[20:21], s[0:1], 10
	s_lshr_b64 s[28:29], s[10:11], 26
	s_add_u32 s22, s22, s33
	s_addc_u32 s23, s23, s31
	s_and_b32 s0, s22, 0x3ffffff
	s_lshr_b64 s[30:31], s[22:23], 26
	s_add_u32 s7, s43, s71
	s_addc_u32 s11, s42, s65
	s_add_u32 s7, s7, s26
	s_addc_u32 s11, s11, s25
	;; [unrolled: 2-line block ×4, first 2 shown]
	s_add_u32 s7, s7, s20
	s_mul_i32 s5, s0, 0x3d10
	s_addc_u32 s11, s11, s21
	s_mul_hi_u32 s3, s0, 0x3d10
	s_add_u32 s5, s7, s5
	v_mov_b32_e32 v0, s22
	s_addc_u32 s3, s11, s3
	v_alignbit_b32 v0, s23, v0, 26
	s_add_u32 s12, s5, s28
	v_readfirstlane_b32 s9, v0
	s_addc_u32 s13, s3, s29
	s_mul_hi_u32 s15, s9, 0x3d10
	s_mulk_i32 s9, 0x3d10
	s_lshl_b64 s[20:21], s[0:1], 10
	s_lshr_b64 s[22:23], s[12:13], 26
	s_add_u32 s0, s9, s16
	s_addc_u32 s3, s15, 0
	s_add_u32 s0, s0, s20
	s_addc_u32 s3, s3, s21
	;; [unrolled: 2-line block ×3, first 2 shown]
	s_lshl_b64 s[16:17], s[30:31], 14
	s_lshr_b64 s[20:21], s[24:25], 22
	s_add_u32 s20, s20, s16
	s_addc_u32 s21, s21, s17
	s_mul_hi_u32 s0, s20, 0x3d1
	s_mul_i32 s5, s21, 0x3d1
	s_mul_i32 s3, s20, 0x3d1
	s_add_i32 s0, s0, s5
	s_add_u32 s16, s3, s41
	s_addc_u32 s17, s0, 0
	s_lshl_b64 s[20:21], s[20:21], 6
	s_lshr_b64 s[22:23], s[16:17], 26
	s_add_u32 s0, s20, s14
	s_addc_u32 s3, s21, 0
	s_add_u32 s14, s0, s22
	s_addc_u32 s15, s3, s23
	s_lshr_b64 s[20:21], s[14:15], 26
	s_add_i32 s18, s18, -1
	s_add_u32 s13, s20, s34
	s_cmp_lg_u32 s18, 0
	s_cbranch_scc1 .LBB0_25
; %bb.26:
	s_and_b32 s20, s10, 0x3ffffff
	v_readlane_b32 s48, v15, 6
	v_readlane_b32 s47, v15, 7
	s_and_b32 s15, s16, 0x3ffffff
	s_and_b32 s16, s2, 0x3ffffff
	v_readlane_b32 s51, v15, 11
	s_and_b32 s17, s4, 0x3ffffff
	v_readlane_b32 s52, v15, 12
	s_mul_i32 s10, s20, s48
	s_mul_hi_u32 s22, s20, s47
	s_and_b32 s14, s14, 0x3ffffff
	s_mul_i32 s11, s16, s51
	s_mul_i32 s21, s17, s52
	s_and_b32 s19, s6, 0x3ffffff
	s_and_b32 s18, s8, 0x3ffffff
	s_add_i32 s10, s22, s10
	s_and_b32 s22, s12, 0x3ffffff
	s_and_b32 s23, s24, 0x3fffff
	s_mul_hi_u32 s2, s16, s51
	s_mul_hi_u32 s4, s17, s52
	v_readlane_b32 s56, v15, 13
	s_add_u32 s11, s21, s11
	s_mul_i32 s25, s19, s56
	s_addc_u32 s2, s4, s2
	s_mul_hi_u32 s6, s19, s56
	v_readlane_b32 s55, v15, 8
	s_add_u32 s4, s11, s25
	s_mul_i32 s26, s18, s55
	s_addc_u32 s2, s2, s6
	s_mul_hi_u32 s8, s18, s55
	s_add_u32 s4, s4, s26
	s_mul_i32 s27, s20, s47
	s_addc_u32 s2, s2, s8
	v_readlane_b32 s54, v15, 5
	s_add_u32 s4, s4, s27
	s_mul_i32 s28, s22, s54
	s_addc_u32 s2, s2, s10
	s_mul_hi_u32 s12, s22, s54
	v_readlane_b32 s53, v15, 4
	s_add_u32 s4, s4, s28
	s_mul_i32 s29, s23, s53
	s_addc_u32 s2, s2, s12
	v_readlane_b32 s46, v15, 14
	s_mul_hi_u32 s24, s23, s53
	s_add_u32 s4, s4, s29
	s_mul_i32 s1, s15, s46
	s_addc_u32 s2, s2, s24
	s_mul_hi_u32 s0, s15, s46
	v_readlane_b32 s49, v15, 9
	s_add_u32 s1, s4, s1
	s_mul_i32 s5, s14, s49
	s_addc_u32 s0, s2, s0
	s_mul_hi_u32 s3, s14, s49
	v_readlane_b32 s50, v15, 10
	s_add_u32 s1, s1, s5
	s_mul_i32 s9, s13, s50
	s_addc_u32 s0, s0, s3
	s_mul_hi_u32 s7, s13, s50
	s_add_u32 s2, s1, s9
	s_addc_u32 s3, s0, s7
	s_mul_i32 s30, s22, s48
	s_mul_hi_u32 s31, s22, s47
	s_and_b32 s12, s2, 0x3ffffff
	s_lshr_b64 s[2:3], s[2:3], 26
	s_mul_i32 s10, s16, s50
	s_mul_i32 s21, s17, s51
	s_add_i32 s31, s31, s30
	s_mul_hi_u32 s9, s16, s50
	s_mul_hi_u32 s11, s17, s51
	s_add_u32 s10, s21, s10
	s_mul_i32 s25, s19, s52
	s_addc_u32 s9, s11, s9
	s_mul_hi_u32 s24, s19, s52
	s_add_u32 s10, s10, s25
	s_mul_i32 s27, s18, s56
	s_addc_u32 s9, s9, s24
	;; [unrolled: 4-line block ×4, first 2 shown]
	s_add_u32 s10, s10, s30
	s_mul_i32 s34, s23, s54
	s_addc_u32 s9, s9, s31
	s_mul_hi_u32 s33, s23, s54
	s_add_u32 s10, s10, s34
	s_mul_i32 s6, s14, s46
	s_addc_u32 s9, s9, s33
	s_mul_hi_u32 s0, s14, s46
	;; [unrolled: 4-line block ×3, first 2 shown]
	s_add_u32 s6, s6, s8
	s_addc_u32 s0, s0, s7
	s_add_u32 s2, s6, s2
	s_addc_u32 s3, s0, s3
	s_and_b32 s0, s2, 0x3ffffff
	s_mul_i32 s4, s15, s53
	s_lshr_b64 s[2:3], s[2:3], 26
	s_mul_i32 s7, s0, 0x3d10
	s_mul_hi_u32 s5, s15, s53
	s_mul_hi_u32 s6, s0, 0x3d10
	s_add_u32 s4, s7, s4
	s_mov_b32 s1, 0
	s_addc_u32 s5, s6, s5
	s_mul_i32 s38, s23, s48
	s_mul_hi_u32 s39, s23, s47
	s_and_b32 s24, s4, 0x3ffffff
	s_lshr_b64 s[4:5], s[4:5], 26
	s_lshl_b64 s[6:7], s[0:1], 10
	s_mul_i32 s26, s16, s49
	s_mul_i32 s28, s17, s50
	s_add_i32 s39, s39, s38
	s_mul_hi_u32 s25, s16, s49
	s_mul_hi_u32 s27, s17, s50
	s_add_u32 s26, s28, s26
	s_mul_i32 s30, s19, s51
	s_addc_u32 s25, s27, s25
	s_mul_hi_u32 s29, s19, s51
	s_add_u32 s26, s26, s30
	s_mul_i32 s33, s18, s52
	s_addc_u32 s25, s25, s29
	;; [unrolled: 4-line block ×5, first 2 shown]
	s_add_u32 s26, s26, s38
	s_mul_i32 s21, s13, s46
	s_addc_u32 s25, s25, s39
	s_mul_hi_u32 s0, s13, s46
	s_add_u32 s21, s26, s21
	s_addc_u32 s0, s25, s0
	s_add_u32 s2, s21, s2
	s_addc_u32 s3, s0, s3
	s_mul_i32 s9, s15, s54
	s_mul_i32 s11, s14, s53
	s_and_b32 s0, s2, 0x3ffffff
	s_lshr_b64 s[2:3], s[2:3], 26
	s_mul_hi_u32 s8, s15, s54
	s_mul_hi_u32 s10, s14, s53
	s_add_u32 s9, s11, s9
	s_addc_u32 s8, s10, s8
	s_add_u32 s6, s9, s6
	s_addc_u32 s7, s8, s7
	s_add_u32 s4, s6, s4
	s_mul_i32 s25, s0, 0x3d10
	s_addc_u32 s5, s7, s5
	s_mul_hi_u32 s21, s0, 0x3d10
	s_add_u32 s4, s4, s25
	s_addc_u32 s5, s5, s21
	s_lshl_b64 s[6:7], s[0:1], 10
	s_mul_i32 s0, s15, s48
	s_mul_hi_u32 s8, s15, s47
	s_and_b32 s28, s4, 0x3ffffff
	s_lshr_b64 s[4:5], s[4:5], 26
	s_add_i32 s8, s8, s0
	s_mul_i32 s26, s16, s46
	s_mul_i32 s29, s17, s49
	s_mul_hi_u32 s0, s16, s46
	s_mul_hi_u32 s27, s17, s49
	s_add_u32 s26, s29, s26
	s_mul_i32 s31, s19, s50
	s_addc_u32 s0, s27, s0
	s_mul_hi_u32 s30, s19, s50
	s_add_u32 s26, s26, s31
	s_mul_i32 s34, s18, s51
	s_addc_u32 s0, s0, s30
	;; [unrolled: 4-line block ×5, first 2 shown]
	s_mul_hi_u32 s39, s23, s55
	s_add_u32 s26, s26, s40
	s_addc_u32 s0, s0, s39
	s_add_u32 s2, s26, s2
	s_addc_u32 s3, s0, s3
	s_mul_i32 s9, s15, s47
	s_mul_i32 s11, s14, s54
	s_and_b32 s0, s2, 0x3ffffff
	s_lshr_b64 s[2:3], s[2:3], 26
	s_mul_hi_u32 s10, s14, s54
	s_add_u32 s9, s11, s9
	s_mul_i32 s25, s13, s53
	s_addc_u32 s8, s10, s8
	s_mul_hi_u32 s21, s13, s53
	s_add_u32 s9, s9, s25
	s_addc_u32 s8, s8, s21
	s_add_u32 s6, s9, s6
	s_mul_i32 s27, s0, 0x3d10
	s_addc_u32 s7, s8, s7
	s_mul_hi_u32 s26, s0, 0x3d10
	s_add_u32 s6, s6, s27
	s_addc_u32 s7, s7, s26
	s_add_u32 s4, s6, s4
	s_addc_u32 s5, s7, s5
	s_lshl_b64 s[6:7], s[0:1], 10
	s_mul_i32 s0, s14, s48
	s_mul_hi_u32 s8, s14, s47
	s_and_b32 s29, s4, 0x3ffffff
	s_lshr_b64 s[4:5], s[4:5], 26
	s_add_i32 s21, s8, s0
	s_mul_i32 s8, s17, s46
	s_mul_i32 s33, s19, s49
	s_mul_hi_u32 s0, s17, s46
	s_mul_hi_u32 s9, s19, s49
	s_add_u32 s8, s33, s8
	s_mul_i32 s35, s18, s50
	s_addc_u32 s0, s9, s0
	s_mul_hi_u32 s34, s18, s50
	s_add_u32 s8, s8, s35
	s_mul_i32 s37, s20, s51
	s_addc_u32 s0, s0, s34
	;; [unrolled: 4-line block ×4, first 2 shown]
	s_mul_hi_u32 s40, s23, s56
	s_add_u32 s8, s8, s41
	s_addc_u32 s0, s0, s40
	s_add_u32 s2, s8, s2
	s_addc_u32 s3, s0, s3
	s_mul_i32 s11, s15, s55
	s_mul_i32 s31, s16, s53
	s_and_b32 s0, s2, 0x3ffffff
	s_lshr_b64 s[8:9], s[2:3], 26
	s_mul_hi_u32 s10, s15, s55
	s_mul_hi_u32 s30, s16, s53
	s_add_u32 s11, s11, s31
	s_mul_i32 s25, s14, s47
	s_addc_u32 s10, s10, s30
	s_add_u32 s11, s11, s25
	s_mul_i32 s27, s13, s54
	s_addc_u32 s10, s10, s21
	s_mul_hi_u32 s26, s13, s54
	s_add_u32 s11, s11, s27
	s_addc_u32 s10, s10, s26
	s_add_u32 s6, s11, s6
	s_mul_i32 s3, s0, 0x3d10
	s_addc_u32 s7, s10, s7
	s_mul_hi_u32 s2, s0, 0x3d10
	s_add_u32 s3, s6, s3
	s_addc_u32 s6, s7, s2
	s_add_u32 s2, s3, s4
	s_addc_u32 s3, s6, s5
	s_lshl_b64 s[6:7], s[0:1], 10
	s_mul_i32 s0, s13, s48
	s_mul_hi_u32 s25, s13, s47
	s_lshr_b64 s[4:5], s[2:3], 26
	s_add_i32 s25, s25, s0
	s_mul_i32 s34, s19, s46
	s_mul_i32 s36, s18, s49
	s_mul_hi_u32 s0, s19, s46
	s_mul_hi_u32 s35, s18, s49
	s_add_u32 s34, s36, s34
	s_mul_i32 s38, s20, s50
	s_addc_u32 s0, s35, s0
	s_mul_hi_u32 s37, s20, s50
	s_add_u32 s34, s34, s38
	s_mul_i32 s40, s22, s51
	s_addc_u32 s0, s0, s37
	;; [unrolled: 4-line block ×3, first 2 shown]
	s_mul_hi_u32 s41, s23, s52
	s_add_u32 s34, s34, s42
	s_addc_u32 s0, s0, s41
	s_add_u32 s8, s34, s8
	s_addc_u32 s9, s0, s9
	s_mul_i32 s30, s16, s54
	s_mul_i32 s33, s17, s53
	s_and_b32 s0, s8, 0x3ffffff
	s_lshr_b64 s[8:9], s[8:9], 26
	s_mul_hi_u32 s27, s16, s54
	s_mul_hi_u32 s31, s17, s53
	s_add_u32 s30, s33, s30
	s_mul_i32 s10, s15, s56
	s_addc_u32 s27, s31, s27
	s_mul_hi_u32 s3, s15, s56
	s_add_u32 s10, s30, s10
	s_mul_i32 s21, s14, s55
	s_addc_u32 s3, s27, s3
	s_mul_hi_u32 s11, s14, s55
	s_add_u32 s10, s10, s21
	s_mul_i32 s26, s13, s47
	s_addc_u32 s3, s3, s11
	s_add_u32 s10, s10, s26
	s_addc_u32 s3, s3, s25
	s_add_u32 s6, s10, s6
	s_mul_i32 s35, s0, 0x3d10
	s_addc_u32 s3, s3, s7
	s_mul_hi_u32 s34, s0, 0x3d10
	s_add_u32 s6, s6, s35
	s_addc_u32 s3, s3, s34
	s_add_u32 s4, s6, s4
	s_addc_u32 s5, s3, s5
	s_lshl_b64 s[10:11], s[0:1], 10
	s_mul_i32 s0, s16, s48
	s_mul_hi_u32 s30, s16, s47
	s_lshr_b64 s[6:7], s[4:5], 26
	s_add_i32 s30, s30, s0
	s_mul_i32 s37, s18, s46
	s_mul_i32 s39, s20, s49
	s_mul_hi_u32 s0, s18, s46
	s_mul_hi_u32 s38, s20, s49
	s_add_u32 s37, s39, s37
	s_mul_i32 s41, s22, s50
	s_addc_u32 s0, s38, s0
	s_mul_hi_u32 s40, s22, s50
	s_add_u32 s37, s37, s41
	s_mul_i32 s43, s23, s51
	s_addc_u32 s0, s0, s40
	s_mul_hi_u32 s42, s23, s51
	s_add_u32 s37, s37, s43
	s_addc_u32 s0, s0, s42
	s_add_u32 s8, s37, s8
	s_addc_u32 s9, s0, s9
	s_mul_i32 s31, s16, s47
	s_mul_i32 s34, s17, s54
	s_and_b32 s0, s8, 0x3ffffff
	s_lshr_b64 s[8:9], s[8:9], 26
	s_mul_hi_u32 s33, s17, s54
	s_add_u32 s31, s34, s31
	s_mul_i32 s36, s19, s53
	s_addc_u32 s30, s33, s30
	s_mul_hi_u32 s35, s19, s53
	s_add_u32 s31, s31, s36
	s_mul_i32 s5, s15, s52
	s_addc_u32 s30, s30, s35
	;; [unrolled: 4-line block ×4, first 2 shown]
	s_mul_hi_u32 s26, s13, s55
	s_add_u32 s5, s5, s27
	s_addc_u32 s3, s3, s26
	s_add_u32 s5, s5, s10
	s_mul_i32 s38, s0, 0x3d10
	s_addc_u32 s3, s3, s11
	s_mul_hi_u32 s37, s0, 0x3d10
	s_add_u32 s5, s5, s38
	s_addc_u32 s3, s3, s37
	s_add_u32 s6, s5, s6
	s_addc_u32 s7, s3, s7
	s_lshl_b64 s[26:27], s[0:1], 10
	s_mul_i32 s0, s17, s48
	s_mul_hi_u32 s30, s17, s47
	s_lshr_b64 s[10:11], s[6:7], 26
	s_add_i32 s36, s30, s0
	s_mul_i32 s30, s20, s46
	s_mul_i32 s42, s22, s49
	s_mul_hi_u32 s0, s20, s46
	s_mul_hi_u32 s31, s22, s49
	s_add_u32 s30, s42, s30
	s_mul_i32 s44, s23, s50
	s_addc_u32 s0, s31, s0
	s_mul_hi_u32 s43, s23, s50
	s_add_u32 s30, s30, s44
	s_addc_u32 s0, s0, s43
	s_add_u32 s8, s30, s8
	s_addc_u32 s9, s0, s9
	s_mul_i32 s35, s16, s55
	s_mul_i32 s37, s17, s47
	s_and_b32 s0, s8, 0x3ffffff
	s_lshr_b64 s[30:31], s[8:9], 26
	s_mul_hi_u32 s34, s16, s55
	s_add_u32 s35, s37, s35
	s_mul_i32 s39, s19, s54
	s_addc_u32 s34, s36, s34
	s_mul_hi_u32 s38, s19, s54
	s_add_u32 s35, s35, s39
	s_mul_i32 s41, s18, s53
	s_addc_u32 s34, s34, s38
	;; [unrolled: 4-line block ×5, first 2 shown]
	s_mul_hi_u32 s25, s13, s56
	s_add_u32 s5, s5, s33
	s_addc_u32 s3, s3, s25
	s_add_u32 s5, s5, s26
	s_mul_i32 s9, s0, 0x3d10
	s_addc_u32 s3, s3, s27
	s_mul_hi_u32 s8, s0, 0x3d10
	s_add_u32 s5, s5, s9
	s_addc_u32 s3, s3, s8
	s_add_u32 s8, s5, s10
	s_addc_u32 s9, s3, s11
	s_lshl_b64 s[26:27], s[0:1], 10
	s_mul_i32 s0, s19, s48
	s_mul_hi_u32 s37, s19, s47
	s_lshr_b64 s[10:11], s[8:9], 26
	s_add_i32 s37, s37, s0
	s_mul_i32 s43, s22, s46
	s_mul_i32 s45, s23, s49
	s_mul_hi_u32 s0, s22, s46
	s_mul_hi_u32 s44, s23, s49
	s_add_u32 s43, s45, s43
	s_addc_u32 s0, s44, s0
	s_add_u32 s30, s43, s30
	s_addc_u32 s31, s0, s31
	s_mul_i32 s34, s16, s56
	s_mul_i32 s36, s17, s55
	s_and_b32 s0, s30, 0x3ffffff
	s_lshr_b64 s[30:31], s[30:31], 26
	s_mul_hi_u32 s33, s16, s56
	s_mul_hi_u32 s35, s17, s55
	s_add_u32 s34, s36, s34
	s_mul_i32 s38, s19, s47
	s_addc_u32 s33, s35, s33
	s_add_u32 s34, s34, s38
	s_mul_i32 s40, s18, s54
	s_addc_u32 s33, s33, s37
	s_mul_hi_u32 s39, s18, s54
	s_add_u32 s34, s34, s40
	s_mul_i32 s42, s20, s53
	s_addc_u32 s33, s33, s39
	s_mul_hi_u32 s41, s20, s53
	;; [unrolled: 4-line block ×5, first 2 shown]
	s_add_u32 s5, s5, s25
	s_addc_u32 s3, s3, s21
	s_add_u32 s5, s5, s26
	s_mul_i32 s44, s0, 0x3d10
	s_addc_u32 s3, s3, s27
	s_mul_hi_u32 s43, s0, 0x3d10
	s_add_u32 s5, s5, s44
	s_addc_u32 s3, s3, s43
	s_add_u32 s10, s5, s10
	s_addc_u32 s11, s3, s11
	s_lshr_b64 s[26:27], s[10:11], 26
	s_lshl_b64 s[34:35], s[0:1], 10
	s_mul_hi_u32 s7, s13, s51
	s_mul_i32 s9, s13, s51
	s_mul_hi_u32 s11, s16, s52
	s_mul_i32 s13, s16, s52
	s_mul_i32 s0, s18, s48
	s_mul_hi_u32 s16, s18, s47
	s_add_i32 s37, s16, s0
	s_mul_hi_u32 s0, s23, s46
	s_mul_i32 s23, s23, s46
	s_add_u32 s16, s30, s23
	s_mul_hi_u32 s21, s17, s56
	s_mul_i32 s25, s17, s56
	s_addc_u32 s17, s31, s0
	s_mul_hi_u32 s33, s19, s55
	s_mul_i32 s36, s19, s55
	s_mul_i32 s38, s18, s47
	s_and_b32 s0, s16, 0x3ffffff
	s_lshr_b64 s[18:19], s[16:17], 26
	s_add_u32 s13, s25, s13
	s_addc_u32 s11, s21, s11
	s_add_u32 s13, s13, s36
	s_addc_u32 s11, s11, s33
	s_add_u32 s13, s13, s38
	s_mul_hi_u32 s39, s20, s54
	s_mul_i32 s20, s20, s54
	s_addc_u32 s11, s11, s37
	s_add_u32 s13, s13, s20
	s_mul_hi_u32 s40, s22, s53
	s_mul_i32 s22, s22, s53
	;; [unrolled: 4-line block ×4, first 2 shown]
	s_addc_u32 s3, s11, s3
	s_add_u32 s11, s13, s14
	s_addc_u32 s3, s3, s5
	s_add_u32 s5, s11, s9
	s_addc_u32 s3, s3, s7
	s_add_u32 s5, s5, s34
	s_mul_i32 s30, s0, 0x3d10
	s_addc_u32 s3, s3, s35
	s_mul_hi_u32 s23, s0, 0x3d10
	s_add_u32 s5, s5, s30
	s_addc_u32 s3, s3, s23
	v_mov_b32_e32 v0, s16
	s_add_u32 s14, s5, s26
	v_alignbit_b32 v0, s17, v0, 26
	s_addc_u32 s15, s3, s27
	s_lshl_b64 s[22:23], s[0:1], 10
	v_readfirstlane_b32 s0, v0
	s_lshr_b64 s[20:21], s[14:15], 26
	s_mul_hi_u32 s3, s0, 0x3d10
	s_mulk_i32 s0, 0x3d10
	s_add_u32 s0, s0, s12
	s_addc_u32 s3, s3, 0
	s_add_u32 s0, s0, s22
	s_addc_u32 s3, s3, s23
	;; [unrolled: 2-line block ×3, first 2 shown]
	s_lshr_b64 s[12:13], s[26:27], 22
	s_lshl_b64 s[16:17], s[18:19], 14
	s_add_u32 s12, s12, s16
	s_addc_u32 s13, s13, s17
	s_mul_i32 s0, s13, 0x3d1
	s_mul_hi_u32 s3, s12, 0x3d1
	s_add_i32 s3, s3, s0
	s_mul_i32 s0, s12, 0x3d1
	s_add_u32 s24, s0, s24
	s_addc_u32 s25, s3, 0
	s_lshr_b64 s[16:17], s[24:25], 26
	s_lshl_b64 s[12:13], s[12:13], 6
	s_add_u32 s0, s12, s28
	s_addc_u32 s3, s13, 0
	s_add_u32 s16, s0, s16
	s_addc_u32 s17, s3, s17
	s_lshr_b64 s[12:13], s[16:17], 26
	s_add_u32 s7, s12, s29
	s_mov_b64 s[12:13], -1
.LBB0_27:                               ; =>This Inner Loop Header: Depth=1
	s_lshl_b32 s19, s24, 1
	s_lshl_b32 s22, s2, 1
	;; [unrolled: 1-line block ×4, first 2 shown]
	s_and_b32 s15, s8, 0x3ffffff
	s_and_b32 s0, s6, 0x3ffffff
	;; [unrolled: 1-line block ×7, first 2 shown]
	s_lshl_b32 s5, s7, 1
	s_and_b32 s3, s10, 0x3ffffff
	s_and_b32 s20, s20, 0x7fffffe
	s_mul_i32 s38, s15, s19
	s_mul_i32 s61, s31, s0
	s_mul_hi_u32 s17, s7, s7
	s_mul_i32 s18, s7, s7
	s_mul_hi_u32 s40, s15, s19
	s_mul_hi_u32 s42, s31, s0
	;; [unrolled: 1-line block ×3, first 2 shown]
	s_mul_i32 s73, s7, s21
	s_mul_hi_u32 s78, s20, s7
	s_mul_i32 s79, s20, s7
	s_add_u32 s7, s38, s61
	s_mul_i32 s41, s3, s5
	s_addc_u32 s61, s40, s42
	s_mul_hi_u32 s36, s3, s5
	s_add_u32 s7, s7, s41
	s_mul_hi_u32 s51, s0, s0
	s_mul_i32 s52, s0, s0
	s_mul_hi_u32 s29, s0, s5
	s_mul_i32 s30, s0, s5
	s_mul_i32 s60, s9, s20
	s_mul_hi_u32 s82, s0, s21
	s_mul_i32 s83, s0, s21
	s_mul_hi_u32 s55, s0, s20
	;; [unrolled: 2-line block ×3, first 2 shown]
	s_mul_i32 s42, s0, s19
	s_addc_u32 s0, s61, s36
	s_mul_hi_u32 s59, s9, s20
	s_add_u32 s7, s7, s60
	s_mul_i32 s58, s11, s21
	s_addc_u32 s0, s0, s59
	s_mul_hi_u32 s57, s11, s21
	s_add_u32 s58, s7, s58
	s_addc_u32 s59, s0, s57
	s_mul_i32 s67, s15, s31
	s_and_b32 s36, s58, 0x3fffffe
	s_and_b32 s0, s24, 0x3ffffff
	s_lshr_b64 s[58:59], s[58:59], 26
	s_mul_hi_u32 s66, s15, s31
	s_mul_hi_u32 s7, s0, s0
	s_mul_i32 s24, s0, s0
	s_add_u32 s0, s67, s52
	s_mul_i32 s65, s3, s19
	s_addc_u32 s51, s66, s51
	s_mul_hi_u32 s64, s3, s19
	s_add_u32 s0, s0, s65
	s_mul_i32 s48, s9, s5
	s_addc_u32 s51, s51, s64
	s_mul_hi_u32 s46, s9, s5
	;; [unrolled: 4-line block ×3, first 2 shown]
	s_add_u32 s0, s0, s63
	s_addc_u32 s46, s46, s62
	s_add_u32 s58, s0, s58
	s_addc_u32 s59, s46, s59
	s_and_b32 s0, s58, 0x3ffffff
	s_lshr_b64 s[58:59], s[58:59], 26
	s_mul_i32 s48, s0, 0x3d10
	s_mul_hi_u32 s46, s0, 0x3d10
	s_add_u32 s60, s48, s24
	s_addc_u32 s61, s46, s7
	s_lshl_b64 s[62:63], s[0:1], 10
	s_and_b32 s0, s16, 0x3ffffff
	s_lshl_b32 s16, s6, 1
	s_and_b32 s16, s16, 0x7fffffe
	s_mul_hi_u32 s37, s15, s15
	s_mul_i32 s39, s15, s15
	s_mul_hi_u32 s25, s15, s5
	s_mul_i32 s26, s15, s5
	s_mul_i32 s71, s3, s31
	s_mul_hi_u32 s53, s15, s21
	s_mul_i32 s54, s15, s21
	s_mul_hi_u32 s49, s15, s20
	s_mul_i32 s50, s15, s20
	s_and_b32 s24, s60, 0x3fffffd
	s_lshr_b64 s[6:7], s[60:61], 26
	s_mul_hi_u32 s46, s21, s0
	s_mul_i32 s48, s21, s0
	s_mul_hi_u32 s51, s0, s0
	s_mul_i32 s52, s0, s0
	;; [unrolled: 2-line block ×3, first 2 shown]
	s_mul_hi_u32 s70, s3, s31
	s_add_u32 s15, s71, s15
	s_mul_i32 s69, s9, s19
	s_addc_u32 s0, s70, s0
	s_mul_hi_u32 s68, s9, s19
	s_add_u32 s15, s15, s69
	s_mul_i32 s44, s11, s5
	s_addc_u32 s0, s0, s68
	s_mul_hi_u32 s43, s11, s5
	s_add_u32 s15, s15, s44
	s_addc_u32 s0, s0, s43
	s_add_u32 s58, s15, s58
	s_addc_u32 s59, s0, s59
	s_and_b32 s0, s58, 0x3ffffff
	s_lshr_b64 s[58:59], s[58:59], 26
	s_add_u32 s43, s62, s48
	s_addc_u32 s44, s63, s46
	s_add_u32 s6, s43, s6
	s_mul_hi_u32 s57, s3, s16
	s_mul_i32 s64, s3, s16
	s_mul_hi_u32 s65, s9, s16
	s_mul_i32 s66, s9, s16
	;; [unrolled: 2-line block ×3, first 2 shown]
	s_mul_i32 s16, s0, 0x3d10
	s_addc_u32 s7, s44, s7
	s_mul_hi_u32 s15, s0, 0x3d10
	s_add_u32 s6, s6, s16
	s_addc_u32 s7, s7, s15
	s_and_b32 s16, s6, 0x3ffffff
	s_lshl_b64 s[60:61], s[0:1], 10
	s_lshr_b64 s[6:7], s[6:7], 26
	s_add_u32 s0, s64, s39
	s_mul_i32 s77, s9, s31
	s_addc_u32 s15, s57, s37
	s_mul_hi_u32 s76, s9, s31
	s_add_u32 s0, s0, s77
	s_mul_i32 s75, s11, s19
	s_addc_u32 s15, s15, s76
	s_mul_hi_u32 s74, s11, s19
	s_add_u32 s0, s0, s75
	s_addc_u32 s15, s15, s74
	s_add_u32 s58, s0, s58
	s_addc_u32 s59, s15, s59
	s_and_b32 s0, s58, 0x3ffffff
	s_lshr_b64 s[58:59], s[58:59], 26
	s_add_u32 s39, s73, s52
	s_addc_u32 s43, s72, s51
	s_add_u32 s39, s39, s60
	s_mul_i32 s37, s0, 0x3d10
	s_addc_u32 s43, s43, s61
	s_mul_hi_u32 s15, s0, 0x3d10
	s_add_u32 s37, s39, s37
	s_addc_u32 s15, s43, s15
	s_add_u32 s6, s37, s6
	s_addc_u32 s7, s15, s7
	s_lshl_b64 s[60:61], s[0:1], 10
	s_and_b32 s0, s2, 0x3ffffff
	s_lshl_b32 s2, s8, 1
	s_and_b32 s2, s2, 0x7fffffe
	s_mul_hi_u32 s22, s3, s3
	s_mul_i32 s23, s3, s3
	s_mul_hi_u32 s45, s3, s21
	s_mul_i32 s47, s3, s21
	;; [unrolled: 2-line block ×3, first 2 shown]
	s_and_b32 s37, s6, 0x3ffffff
	s_lshr_b64 s[6:7], s[6:7], 26
	s_mul_hi_u32 s8, s0, s21
	s_mul_i32 s15, s0, s21
	s_mul_hi_u32 s39, s0, s20
	s_mul_i32 s43, s0, s20
	;; [unrolled: 2-line block ×7, first 2 shown]
	s_add_u32 s2, s66, s3
	s_mul_i32 s81, s11, s31
	s_addc_u32 s0, s65, s0
	s_mul_hi_u32 s80, s11, s31
	s_add_u32 s2, s2, s81
	s_addc_u32 s0, s0, s80
	s_add_u32 s2, s2, s58
	s_addc_u32 s3, s0, s59
	s_and_b32 s0, s2, 0x3ffffff
	s_lshr_b64 s[58:59], s[2:3], 26
	s_add_u32 s15, s15, s79
	s_addc_u32 s8, s8, s78
	s_add_u32 s15, s15, s60
	s_mul_i32 s3, s0, 0x3d10
	s_addc_u32 s8, s8, s61
	s_mul_hi_u32 s2, s0, 0x3d10
	s_add_u32 s3, s15, s3
	s_addc_u32 s8, s8, s2
	s_add_u32 s2, s3, s6
	s_addc_u32 s3, s8, s7
	s_lshl_b64 s[6:7], s[0:1], 10
	s_and_b32 s0, s4, 0x3ffffff
	s_lshr_b64 s[60:61], s[2:3], 26
	s_mul_hi_u32 s3, s0, s21
	s_mul_i32 s8, s0, s21
	s_mul_hi_u32 s15, s0, s20
	s_mul_i32 s64, s0, s20
	;; [unrolled: 2-line block ×5, first 2 shown]
	s_add_u32 s0, s57, s23
	s_addc_u32 s4, s52, s22
	s_add_u32 s0, s0, s84
	s_addc_u32 s5, s4, s67
	s_add_u32 s4, s0, s58
	s_addc_u32 s5, s5, s59
	s_mul_hi_u32 s31, s9, s21
	s_mul_i32 s33, s9, s21
	s_and_b32 s0, s4, 0x3ffffff
	s_lshr_b64 s[20:21], s[4:5], 26
	s_add_u32 s18, s43, s18
	s_addc_u32 s17, s39, s17
	s_add_u32 s8, s18, s8
	s_addc_u32 s3, s17, s3
	s_add_u32 s6, s8, s6
	s_mul_i32 s5, s0, 0x3d10
	s_addc_u32 s3, s3, s7
	s_mul_hi_u32 s4, s0, 0x3d10
	s_add_u32 s5, s6, s5
	s_addc_u32 s3, s3, s4
	s_add_u32 s4, s5, s60
	s_addc_u32 s5, s3, s61
	s_lshl_b64 s[6:7], s[0:1], 10
	s_lshl_b32 s0, s10, 1
	s_and_b32 s0, s0, 0x7fffffe
	s_lshr_b64 s[18:19], s[4:5], 26
	s_mul_i32 s5, s0, s9
	s_mul_hi_u32 s3, s0, s9
	s_mul_hi_u32 s10, s11, s0
	s_mul_i32 s17, s11, s0
	s_add_u32 s0, s63, s5
	s_addc_u32 s3, s62, s3
	s_add_u32 s8, s0, s20
	s_mul_hi_u32 s27, s9, s9
	s_mul_i32 s28, s9, s9
	s_addc_u32 s9, s3, s21
	s_and_b32 s0, s8, 0x3ffffff
	s_lshr_b64 s[8:9], s[8:9], 26
	s_add_u32 s20, s64, s46
	s_addc_u32 s15, s15, s44
	s_add_u32 s20, s20, s83
	s_addc_u32 s15, s15, s82
	s_add_u32 s6, s20, s6
	s_mul_i32 s5, s0, 0x3d10
	s_addc_u32 s7, s15, s7
	s_mul_hi_u32 s3, s0, 0x3d10
	s_add_u32 s5, s6, s5
	s_addc_u32 s3, s7, s3
	s_add_u32 s6, s5, s18
	s_addc_u32 s7, s3, s19
	s_lshl_b64 s[18:19], s[0:1], 10
	s_lshr_b64 s[20:21], s[6:7], 26
	s_add_u32 s0, s17, s28
	s_addc_u32 s3, s10, s27
	s_add_u32 s8, s0, s8
	s_addc_u32 s9, s3, s9
	s_and_b32 s0, s8, 0x3ffffff
	s_lshr_b64 s[22:23], s[8:9], 26
	s_add_u32 s7, s66, s51
	s_addc_u32 s8, s65, s48
	s_add_u32 s7, s7, s56
	s_addc_u32 s8, s8, s55
	;; [unrolled: 2-line block ×3, first 2 shown]
	s_add_u32 s7, s7, s18
	s_mul_i32 s5, s0, 0x3d10
	s_addc_u32 s8, s8, s19
	s_mul_hi_u32 s3, s0, 0x3d10
	s_add_u32 s5, s7, s5
	s_addc_u32 s3, s8, s3
	s_add_u32 s8, s5, s20
	s_addc_u32 s9, s3, s21
	s_lshl_b64 s[18:19], s[0:1], 10
	s_lshl_b32 s0, s14, 1
	s_and_b32 s0, s0, 0x7fffffe
	s_lshr_b64 s[14:15], s[8:9], 26
	s_mul_hi_u32 s3, s0, s11
	s_mul_i32 s0, s0, s11
	s_add_u32 s10, s22, s0
	s_mul_hi_u32 s34, s11, s11
	s_mul_i32 s35, s11, s11
	s_addc_u32 s11, s23, s3
	s_and_b32 s0, s10, 0x3ffffff
	s_lshr_b64 s[20:21], s[10:11], 26
	s_add_u32 s7, s30, s69
	s_addc_u32 s9, s29, s68
	s_add_u32 s7, s7, s50
	s_addc_u32 s9, s9, s49
	s_add_u32 s7, s7, s47
	s_addc_u32 s9, s9, s45
	s_add_u32 s7, s7, s18
	s_mul_i32 s5, s0, 0x3d10
	s_addc_u32 s9, s9, s19
	s_mul_hi_u32 s3, s0, 0x3d10
	s_add_u32 s5, s7, s5
	s_addc_u32 s3, s9, s3
	s_add_u32 s10, s5, s14
	s_addc_u32 s11, s3, s15
	s_lshl_b64 s[14:15], s[0:1], 10
	s_lshr_b64 s[18:19], s[10:11], 26
	s_add_u32 s20, s20, s35
	s_addc_u32 s21, s21, s34
	s_and_b32 s0, s20, 0x3ffffff
	s_lshr_b64 s[22:23], s[20:21], 26
	s_add_u32 s7, s42, s71
	s_addc_u32 s11, s41, s70
	s_add_u32 s7, s7, s26
	s_addc_u32 s11, s11, s25
	;; [unrolled: 2-line block ×4, first 2 shown]
	s_add_u32 s7, s7, s14
	s_mul_i32 s5, s0, 0x3d10
	s_addc_u32 s11, s11, s15
	s_mul_hi_u32 s3, s0, 0x3d10
	s_add_u32 s5, s7, s5
	v_mov_b32_e32 v0, s20
	s_addc_u32 s3, s11, s3
	v_alignbit_b32 v0, s21, v0, 26
	s_add_u32 s14, s5, s18
	v_readfirstlane_b32 s9, v0
	s_addc_u32 s15, s3, s19
	s_mul_hi_u32 s17, s9, 0x3d10
	s_mulk_i32 s9, 0x3d10
	s_lshl_b64 s[18:19], s[0:1], 10
	s_lshr_b64 s[20:21], s[14:15], 26
	s_add_u32 s0, s9, s36
	s_addc_u32 s3, s17, 0
	s_add_u32 s0, s0, s18
	s_addc_u32 s3, s3, s19
	;; [unrolled: 2-line block ×3, first 2 shown]
	s_lshl_b64 s[18:19], s[22:23], 14
	s_lshr_b64 s[20:21], s[26:27], 22
	s_add_u32 s18, s20, s18
	s_addc_u32 s19, s21, s19
	s_mul_hi_u32 s0, s18, 0x3d1
	s_mul_i32 s5, s19, 0x3d1
	s_mul_i32 s3, s18, 0x3d1
	s_add_i32 s0, s0, s5
	s_add_u32 s24, s3, s24
	s_addc_u32 s25, s0, 0
	s_lshl_b64 s[18:19], s[18:19], 6
	s_lshr_b64 s[20:21], s[24:25], 26
	s_add_u32 s0, s18, s16
	s_addc_u32 s3, s19, 0
	s_add_u32 s16, s0, s20
	s_addc_u32 s17, s3, s21
	s_lshr_b64 s[18:19], s[16:17], 26
	s_and_b64 vcc, exec, s[12:13]
	s_mov_b64 s[12:13], 0
	s_add_u32 s7, s18, s37
	s_cbranch_vccnz .LBB0_27
; %bb.28:
	s_and_b32 s11, s14, 0x3ffffff
	s_and_b32 s14, s4, 0x3ffffff
	;; [unrolled: 1-line block ×3, first 2 shown]
	v_readlane_b32 s50, v15, 17
	s_and_b32 s9, s26, 0x3fffff
	s_and_b32 s10, s10, 0x3ffffff
	;; [unrolled: 1-line block ×4, first 2 shown]
	s_mul_i32 s22, s14, s94
	s_mul_i32 s23, s15, s50
	s_and_b32 s16, s16, 0x3ffffff
	s_and_b32 s17, s24, 0x3ffffff
	s_mul_hi_u32 s4, s14, s94
	s_mul_hi_u32 s2, s15, s50
	s_add_u32 s22, s22, s23
	s_mul_i32 s21, s13, s93
	s_addc_u32 s2, s4, s2
	s_mul_hi_u32 s6, s13, s93
	s_add_u32 s4, s22, s21
	s_mul_i32 s20, s12, s89
	s_addc_u32 s2, s2, s6
	;; [unrolled: 4-line block ×7, first 2 shown]
	v_readlane_b32 s51, v15, 16
	s_mul_hi_u32 s27, s16, s85
	s_add_u32 s1, s1, s28
	s_mul_i32 s26, s7, s51
	s_addc_u32 s0, s0, s27
	s_mul_hi_u32 s25, s7, s51
	s_add_u32 s2, s1, s26
	s_addc_u32 s3, s0, s25
	s_and_b32 s6, s2, 0x3ffffff
	s_lshr_b64 s[2:3], s[2:3], 26
	s_mul_i32 s27, s14, s50
	s_mul_i32 s29, s15, s51
	s_mul_hi_u32 s26, s14, s50
	s_mul_hi_u32 s28, s15, s51
	s_add_u32 s27, s27, s29
	s_mul_i32 s25, s13, s94
	s_addc_u32 s26, s26, s28
	s_mul_hi_u32 s24, s13, s94
	s_add_u32 s25, s27, s25
	s_mul_i32 s23, s12, s93
	s_addc_u32 s24, s26, s24
	;; [unrolled: 4-line block ×7, first 2 shown]
	s_mul_hi_u32 s30, s7, s85
	s_add_u32 s8, s8, s31
	s_addc_u32 s0, s0, s30
	s_add_u32 s2, s8, s2
	s_addc_u32 s3, s0, s3
	s_and_b32 s0, s2, 0x3ffffff
	s_mul_i32 s4, s17, s88
	s_lshr_b64 s[2:3], s[2:3], 26
	s_mul_i32 s19, s0, 0x3d10
	s_mul_hi_u32 s5, s17, s88
	s_mul_hi_u32 s8, s0, 0x3d10
	s_add_u32 s4, s19, s4
	s_mov_b32 s1, 0
	s_addc_u32 s5, s8, s5
	s_and_b32 s8, s4, 0x3ffffff
	s_lshr_b64 s[4:5], s[4:5], 26
	s_lshl_b64 s[20:21], s[0:1], 10
	s_mul_i32 s36, s14, s51
	s_mul_i32 s38, s15, s85
	s_mul_hi_u32 s35, s14, s51
	s_mul_hi_u32 s37, s15, s85
	s_add_u32 s36, s36, s38
	s_mul_i32 s34, s13, s50
	s_addc_u32 s35, s35, s37
	s_mul_hi_u32 s33, s13, s50
	s_add_u32 s34, s36, s34
	s_mul_i32 s31, s12, s94
	s_addc_u32 s33, s35, s33
	;; [unrolled: 4-line block ×6, first 2 shown]
	s_mul_hi_u32 s39, s7, s86
	s_add_u32 s25, s25, s40
	s_addc_u32 s0, s0, s39
	s_add_u32 s2, s25, s2
	s_addc_u32 s3, s0, s3
	s_mul_i32 s22, s16, s88
	s_mul_i32 s24, s17, s87
	s_and_b32 s0, s2, 0x3ffffff
	s_lshr_b64 s[2:3], s[2:3], 26
	s_mul_hi_u32 s19, s16, s88
	s_mul_hi_u32 s23, s17, s87
	s_add_u32 s22, s22, s24
	s_addc_u32 s19, s19, s23
	s_add_u32 s20, s22, s20
	s_addc_u32 s19, s19, s21
	s_add_u32 s4, s20, s4
	s_mul_i32 s26, s0, 0x3d10
	s_addc_u32 s5, s19, s5
	s_mul_hi_u32 s25, s0, 0x3d10
	s_add_u32 s4, s4, s26
	s_addc_u32 s5, s5, s25
	s_and_b32 s19, s4, 0x3ffffff
	s_lshr_b64 s[4:5], s[4:5], 26
	s_lshl_b64 s[20:21], s[0:1], 10
	s_mul_i32 s39, s14, s85
	s_mul_i32 s41, s15, s86
	s_mul_hi_u32 s38, s14, s85
	s_mul_hi_u32 s40, s15, s86
	s_add_u32 s39, s39, s41
	s_mul_i32 s37, s13, s51
	s_addc_u32 s38, s38, s40
	s_mul_hi_u32 s36, s13, s51
	s_add_u32 s37, s39, s37
	s_mul_i32 s35, s12, s50
	s_addc_u32 s36, s38, s36
	;; [unrolled: 4-line block ×5, first 2 shown]
	s_mul_hi_u32 s0, s9, s89
	s_add_u32 s28, s30, s28
	s_addc_u32 s0, s29, s0
	s_add_u32 s2, s28, s2
	s_addc_u32 s3, s0, s3
	s_mul_i32 s25, s16, s87
	s_mul_i32 s27, s17, s92
	s_and_b32 s0, s2, 0x3ffffff
	s_lshr_b64 s[2:3], s[2:3], 26
	s_mul_hi_u32 s24, s16, s87
	s_mul_hi_u32 s26, s17, s92
	s_add_u32 s25, s25, s27
	s_mul_i32 s23, s7, s88
	s_addc_u32 s24, s24, s26
	s_mul_hi_u32 s22, s7, s88
	s_add_u32 s23, s25, s23
	s_addc_u32 s22, s24, s22
	s_add_u32 s20, s23, s20
	s_mul_i32 s29, s0, 0x3d10
	s_addc_u32 s21, s22, s21
	s_mul_hi_u32 s28, s0, 0x3d10
	s_add_u32 s20, s20, s29
	s_addc_u32 s21, s21, s28
	s_add_u32 s4, s20, s4
	s_addc_u32 s5, s21, s5
	s_and_b32 s20, s4, 0x3ffffff
	s_lshr_b64 s[4:5], s[4:5], 26
	s_lshl_b64 s[22:23], s[0:1], 10
	s_mul_i32 s40, s13, s85
	s_mul_i32 s42, s14, s86
	s_mul_hi_u32 s39, s13, s85
	s_mul_hi_u32 s41, s14, s86
	s_add_u32 s40, s40, s42
	s_mul_i32 s38, s12, s51
	s_addc_u32 s39, s39, s41
	s_mul_hi_u32 s37, s12, s51
	s_add_u32 s38, s40, s38
	s_mul_i32 s36, s10, s50
	s_addc_u32 s37, s39, s37
	s_mul_hi_u32 s35, s10, s50
	s_add_u32 s36, s38, s36
	s_mul_i32 s34, s11, s94
	s_addc_u32 s35, s37, s35
	s_mul_hi_u32 s25, s11, s94
	s_add_u32 s34, s36, s34
	s_mul_i32 s24, s9, s93
	s_addc_u32 s25, s35, s25
	s_mul_hi_u32 s0, s9, s93
	s_add_u32 s24, s34, s24
	s_addc_u32 s0, s25, s0
	s_add_u32 s2, s24, s2
	s_addc_u32 s3, s0, s3
	s_mul_i32 s26, s15, s88
	s_mul_i32 s33, s17, s89
	s_and_b32 s0, s2, 0x3ffffff
	s_lshr_b64 s[24:25], s[2:3], 26
	s_mul_hi_u32 s21, s15, s88
	s_mul_hi_u32 s31, s17, s89
	s_add_u32 s26, s33, s26
	s_mul_i32 s30, s16, s92
	s_addc_u32 s21, s31, s21
	s_mul_hi_u32 s29, s16, s92
	s_add_u32 s26, s26, s30
	s_mul_i32 s28, s7, s87
	s_addc_u32 s21, s21, s29
	s_mul_hi_u32 s27, s7, s87
	s_add_u32 s26, s26, s28
	s_addc_u32 s21, s21, s27
	s_add_u32 s22, s26, s22
	s_mul_i32 s3, s0, 0x3d10
	s_addc_u32 s21, s21, s23
	s_mul_hi_u32 s2, s0, 0x3d10
	s_add_u32 s3, s22, s3
	s_addc_u32 s21, s21, s2
	s_add_u32 s2, s3, s4
	s_addc_u32 s3, s21, s5
	s_lshr_b64 s[4:5], s[2:3], 26
	s_lshl_b64 s[22:23], s[0:1], 10
	s_mul_i32 s41, s12, s85
	s_mul_i32 s43, s13, s86
	s_mul_hi_u32 s40, s12, s85
	s_mul_hi_u32 s42, s13, s86
	s_add_u32 s41, s41, s43
	s_mul_i32 s39, s10, s51
	s_addc_u32 s40, s40, s42
	s_mul_hi_u32 s38, s10, s51
	s_add_u32 s39, s41, s39
	s_mul_i32 s37, s11, s50
	s_addc_u32 s38, s40, s38
	;; [unrolled: 4-line block ×3, first 2 shown]
	s_mul_hi_u32 s0, s9, s94
	s_add_u32 s35, s37, s35
	s_addc_u32 s0, s36, s0
	s_add_u32 s24, s35, s24
	s_addc_u32 s25, s0, s25
	s_mul_i32 s21, s14, s88
	s_mul_i32 s27, s15, s87
	s_and_b32 s0, s24, 0x3ffffff
	s_lshr_b64 s[24:25], s[24:25], 26
	s_mul_hi_u32 s3, s14, s88
	s_mul_hi_u32 s26, s15, s87
	s_add_u32 s21, s21, s27
	s_mul_i32 s34, s17, s93
	s_addc_u32 s3, s3, s26
	s_mul_hi_u32 s33, s17, s93
	s_add_u32 s21, s21, s34
	s_mul_i32 s31, s16, s89
	s_addc_u32 s3, s3, s33
	;; [unrolled: 4-line block ×3, first 2 shown]
	s_mul_hi_u32 s28, s7, s92
	s_add_u32 s21, s21, s29
	s_addc_u32 s3, s3, s28
	s_add_u32 s21, s21, s22
	s_mul_i32 s36, s0, 0x3d10
	s_addc_u32 s22, s3, s23
	s_mul_hi_u32 s35, s0, 0x3d10
	s_add_u32 s3, s21, s36
	s_addc_u32 s21, s22, s35
	s_lshl_b64 s[22:23], s[0:1], 10
	s_mul_i32 s43, s10, s85
	s_mul_i32 s45, s12, s86
	s_mul_hi_u32 s42, s10, s85
	s_mul_hi_u32 s44, s12, s86
	s_add_u32 s43, s43, s45
	s_mul_i32 s41, s11, s51
	s_addc_u32 s42, s42, s44
	s_mul_hi_u32 s40, s11, s51
	s_add_u32 s41, s43, s41
	s_mul_i32 s39, s9, s50
	s_addc_u32 s40, s42, s40
	s_mul_hi_u32 s0, s9, s50
	s_add_u32 s39, s41, s39
	s_addc_u32 s0, s40, s0
	s_add_u32 s24, s39, s24
	s_addc_u32 s25, s0, s25
	s_mul_i32 s29, s14, s87
	s_mul_i32 s31, s15, s92
	s_and_b32 s0, s24, 0x3ffffff
	s_lshr_b64 s[24:25], s[24:25], 26
	s_mul_hi_u32 s28, s14, s87
	s_mul_hi_u32 s30, s15, s92
	s_add_u32 s29, s29, s31
	s_mul_i32 s27, s13, s88
	s_addc_u32 s28, s28, s30
	s_mul_hi_u32 s26, s13, s88
	s_add_u32 s27, s29, s27
	s_mul_i32 s38, s17, s94
	s_addc_u32 s26, s28, s26
	s_mul_hi_u32 s37, s17, s94
	s_add_u32 s27, s27, s38
	s_mul_i32 s36, s16, s93
	s_addc_u32 s26, s26, s37
	s_mul_hi_u32 s35, s16, s93
	s_add_u32 s27, s27, s36
	s_mul_i32 s34, s7, s89
	s_addc_u32 s26, s26, s35
	s_mul_hi_u32 s33, s7, s89
	s_add_u32 s27, s27, s34
	s_addc_u32 s26, s26, s33
	s_add_u32 s22, s27, s22
	s_mul_i32 s40, s0, 0x3d10
	s_addc_u32 s23, s26, s23
	s_mul_hi_u32 s39, s0, 0x3d10
	s_add_u32 s26, s22, s40
	s_addc_u32 s27, s23, s39
	s_lshl_b64 s[22:23], s[0:1], 10
	s_mul_i32 s45, s11, s85
	s_mul_i32 s47, s10, s86
	s_mul_hi_u32 s44, s11, s85
	s_mul_hi_u32 s46, s10, s86
	s_add_u32 s45, s45, s47
	s_mul_i32 s43, s9, s51
	s_addc_u32 s44, s44, s46
	s_mul_hi_u32 s0, s9, s51
	s_add_u32 s43, s45, s43
	s_addc_u32 s0, s44, s0
	s_add_u32 s24, s43, s24
	s_addc_u32 s25, s0, s25
	s_mul_i32 s34, s14, s92
	s_mul_i32 s36, s15, s89
	s_and_b32 s0, s24, 0x3ffffff
	s_lshr_b64 s[24:25], s[24:25], 26
	s_mul_hi_u32 s33, s14, s92
	s_mul_hi_u32 s35, s15, s89
	s_add_u32 s34, s34, s36
	s_mul_i32 s31, s13, s87
	s_addc_u32 s33, s33, s35
	s_mul_hi_u32 s30, s13, s87
	s_add_u32 s31, s34, s31
	s_mul_i32 s29, s12, s88
	s_addc_u32 s30, s33, s30
	;; [unrolled: 4-line block ×5, first 2 shown]
	s_mul_hi_u32 s37, s7, s93
	s_add_u32 s29, s29, s38
	s_addc_u32 s28, s28, s37
	s_add_u32 s22, s29, s22
	s_mul_i32 s44, s0, 0x3d10
	s_addc_u32 s23, s28, s23
	s_mul_hi_u32 s43, s0, 0x3d10
	s_add_u32 s28, s22, s44
	s_addc_u32 s29, s23, s43
	s_lshl_b64 s[22:23], s[0:1], 10
	s_mul_i32 s47, s9, s85
	s_mul_i32 s49, s11, s86
	s_mul_hi_u32 s0, s9, s85
	s_mul_hi_u32 s48, s11, s86
	s_add_u32 s47, s47, s49
	s_addc_u32 s0, s0, s48
	s_add_u32 s24, s47, s24
	s_addc_u32 s25, s0, s25
	s_mul_i32 s38, s14, s89
	s_mul_i32 s40, s15, s93
	s_and_b32 s0, s24, 0x3ffffff
	s_lshr_b64 s[24:25], s[24:25], 26
	s_mul_hi_u32 s37, s14, s89
	s_mul_hi_u32 s39, s15, s93
	s_add_u32 s38, s38, s40
	s_mul_i32 s36, s13, s92
	s_addc_u32 s37, s37, s39
	s_mul_hi_u32 s35, s13, s92
	s_add_u32 s36, s38, s36
	s_mul_i32 s34, s12, s87
	s_addc_u32 s35, s37, s35
	;; [unrolled: 4-line block ×6, first 2 shown]
	s_mul_hi_u32 s41, s7, s94
	s_add_u32 s31, s31, s42
	s_addc_u32 s30, s30, s41
	s_add_u32 s22, s31, s22
	s_mul_i32 s48, s0, 0x3d10
	s_addc_u32 s23, s30, s23
	s_mul_hi_u32 s47, s0, 0x3d10
	s_add_u32 s30, s22, s48
	s_addc_u32 s31, s23, s47
	s_lshl_b64 s[22:23], s[0:1], 10
	s_mul_hi_u32 s0, s9, s86
	s_mul_i32 s9, s9, s86
	s_mul_hi_u32 s35, s10, s87
	s_mul_i32 s36, s10, s87
	s_add_u32 s10, s24, s9
	s_mul_hi_u32 s33, s11, s88
	s_mul_i32 s34, s11, s88
	s_addc_u32 s11, s25, s0
	s_mul_hi_u32 s37, s12, s92
	s_mul_i32 s38, s12, s92
	s_mul_hi_u32 s39, s13, s89
	s_mul_i32 s40, s13, s89
	;; [unrolled: 2-line block ×4, first 2 shown]
	s_and_b32 s0, s10, 0x3ffffff
	s_lshr_b64 s[12:13], s[10:11], 26
	s_add_u32 s14, s14, s15
	s_addc_u32 s15, s41, s42
	s_add_u32 s14, s14, s40
	s_addc_u32 s15, s15, s39
	;; [unrolled: 2-line block ×4, first 2 shown]
	s_add_u32 s14, s14, s34
	s_mul_hi_u32 s45, s17, s85
	s_mul_i32 s17, s17, s85
	s_addc_u32 s15, s15, s33
	s_add_u32 s14, s14, s17
	s_mul_hi_u32 s44, s16, s51
	s_mul_i32 s16, s16, s51
	s_addc_u32 s15, s15, s45
	;; [unrolled: 4-line block ×3, first 2 shown]
	s_add_u32 s7, s14, s7
	s_addc_u32 s14, s15, s43
	v_mov_b32_e32 v1, s10
	s_movk_i32 s18, 0x3d10
	s_add_u32 s7, s7, s22
	v_alignbit_b32 v1, s11, v1, 26
	s_mul_i32 s24, s0, 0x3d10
	s_addc_u32 s14, s14, s23
	v_mul_hi_u32 v2, v1, s18
	v_mul_lo_u32 v1, v1, s18
	s_mul_hi_u32 s9, s0, 0x3d10
	s_add_u32 s16, s7, s24
	v_add_co_u32_e32 v1, vcc, s6, v1
	s_addc_u32 s9, s14, s9
	s_lshl_b64 s[0:1], s[0:1], 10
	v_addc_co_u32_e32 v2, vcc, 0, v2, vcc
	s_lshl_b64 s[6:7], s[12:13], 14
	v_add_co_u32_e32 v1, vcc, s0, v1
	s_add_u32 s0, s3, s4
	v_mov_b32_e32 v3, s1
	s_addc_u32 s1, s21, s5
	s_lshr_b64 s[4:5], s[0:1], 26
	s_add_u32 s4, s26, s4
	s_addc_u32 s5, s27, s5
	s_lshr_b64 s[10:11], s[4:5], 26
	s_add_u32 s10, s28, s10
	;; [unrolled: 3-line block ×4, first 2 shown]
	s_addc_u32 s15, s9, s15
	v_addc_co_u32_e32 v3, vcc, v2, v3, vcc
	s_lshr_b64 s[16:17], s[14:15], 26
	v_mov_b32_e32 v4, s17
	v_add_co_u32_e32 v2, vcc, s16, v1
	v_addc_co_u32_e32 v3, vcc, v3, v4, vcc
	v_lshrrev_b64 v[4:5], 22, v[2:3]
	v_mov_b32_e32 v1, s7
	v_add_co_u32_e32 v4, vcc, s6, v4
	v_addc_co_u32_e32 v5, vcc, v5, v1, vcc
	s_movk_i32 s1, 0x3d1
	v_mul_lo_u32 v1, v5, s1
	v_mul_hi_u32 v3, v4, s1
	v_add_u32_e32 v1, v3, v1
	v_mul_lo_u32 v3, v4, s1
	v_add_co_u32_e32 v6, vcc, s8, v3
	v_addc_co_u32_e32 v7, vcc, 0, v1, vcc
	v_lshlrev_b64 v[4:5], 6, v[4:5]
	v_add_co_u32_e32 v1, vcc, s19, v4
	v_lshrrev_b64 v[8:9], 26, v[6:7]
	v_addc_co_u32_e32 v3, vcc, 0, v5, vcc
	v_add_co_u32_e32 v1, vcc, v1, v8
	v_addc_co_u32_e32 v3, vcc, v3, v9, vcc
	s_lshl_b32 s6, s12, 6
	s_bfe_u32 s7, s10, 0x60014
	v_alignbit_b32 v3, v3, v1, 26
	s_lshr_b32 s3, s14, 8
	s_lshr_b32 s5, s12, 18
	s_or_b32 s6, s6, s7
	s_lshr_b32 s7, s10, 12
	s_lshr_b32 s8, s10, 4
	s_lshl_b32 s9, s10, 4
	s_bfe_u32 s10, s4, 0x40016
	v_add_u32_e32 v7, s20, v3
	v_lshlrev_b16_e64 v3, 8, s5
	v_lshlrev_b16_e64 v4, 8, s3
	s_lshr_b32 s3, s12, 10
	s_lshr_b32 s5, s12, 2
	s_or_b32 s9, s9, s10
	s_lshr_b32 s10, s4, 14
	s_lshr_b32 s11, s4, 6
	s_lshl_b32 s4, s4, 2
	s_bfe_u32 s12, s0, 0x20018
	s_or_b32 s4, s4, s12
	v_lshrrev_b32_e32 v11, 8, v4
	v_lshlrev_b16_e64 v4, 8, s10
	v_lshlrev_b16_e64 v5, 8, s4
	v_or_b32_sdwa v4, s9, v4 dst_sel:DWORD dst_unused:UNUSED_PAD src0_sel:BYTE_0 src1_sel:DWORD
	v_or_b32_sdwa v5, s11, v5 dst_sel:WORD_1 dst_unused:UNUSED_PAD src0_sel:BYTE_0 src1_sel:DWORD
	v_mov_b32_e32 v9, 6
	v_or_b32_sdwa v5, v4, v5 dst_sel:DWORD dst_unused:UNUSED_PAD src0_sel:WORD_0 src1_sel:DWORD
	v_lshlrev_b16_e64 v4, 8, s6
	v_lshlrev_b16_e64 v12, 8, s8
	v_lshrrev_b32_e32 v8, 14, v2
	v_lshrrev_b32_sdwa v10, v9, v2 dst_sel:BYTE_1 dst_unused:UNUSED_PAD src0_sel:DWORD src1_sel:DWORD
	v_lshlrev_b32_e32 v2, 2, v2
	s_bfe_u32 s1, s14, 0x20018
	v_or_b32_sdwa v4, s5, v4 dst_sel:DWORD dst_unused:UNUSED_PAD src0_sel:BYTE_0 src1_sel:DWORD
	v_or_b32_sdwa v12, s7, v12 dst_sel:WORD_1 dst_unused:UNUSED_PAD src0_sel:BYTE_0 src1_sel:DWORD
	v_or_b32_e32 v2, s1, v2
	s_lshr_b32 s1, s14, 16
	v_or_b32_sdwa v4, v4, v12 dst_sel:DWORD dst_unused:UNUSED_PAD src0_sel:WORD_0 src1_sel:DWORD
	v_lshlrev_b16_e64 v12, 8, s14
	v_lshrrev_b32_e32 v3, 8, v3
	v_or_b32_e32 v11, v11, v12
	v_lshlrev_b16_e64 v12, 8, s3
	v_or_b32_sdwa v8, v8, v10 dst_sel:DWORD dst_unused:UNUSED_PAD src0_sel:BYTE_0 src1_sel:DWORD
	v_lshlrev_b16_e64 v10, 8, s1
	v_or_b32_sdwa v3, v3, v12 dst_sel:WORD_1 dst_unused:UNUSED_PAD src0_sel:BYTE_0 src1_sel:DWORD
	v_or_b32_sdwa v2, v2, v10 dst_sel:WORD_1 dst_unused:UNUSED_PAD src0_sel:BYTE_0 src1_sel:DWORD
	v_mov_b32_e32 v0, 0
	v_or_b32_sdwa v3, v11, v3 dst_sel:DWORD dst_unused:UNUSED_PAD src0_sel:WORD_0 src1_sel:DWORD
	v_or_b32_sdwa v2, v8, v2 dst_sel:DWORD dst_unused:UNUSED_PAD src0_sel:WORD_0 src1_sel:DWORD
	s_lshr_b32 s3, s0, 8
	s_lshr_b32 s4, s2, 18
	global_store_dwordx4 v0, v[2:5], s[90:91]
	s_lshr_b32 s1, s0, 16
	v_lshlrev_b16_e64 v2, 8, s3
	v_lshlrev_b16_e64 v3, 8, s4
	v_or_b32_sdwa v2, s1, v2 dst_sel:DWORD dst_unused:UNUSED_PAD src0_sel:BYTE_0 src1_sel:DWORD
	v_or_b32_sdwa v3, s0, v3 dst_sel:WORD_1 dst_unused:UNUSED_PAD src0_sel:BYTE_0 src1_sel:DWORD
	v_mov_b32_e32 v4, 12
	v_or_b32_sdwa v2, v2, v3 dst_sel:DWORD dst_unused:UNUSED_PAD src0_sel:WORD_0 src1_sel:DWORD
	v_bfe_u32 v3, v7, 20, 6
	v_lshrrev_b32_sdwa v8, v4, v7 dst_sel:BYTE_1 dst_unused:UNUSED_PAD src0_sel:DWORD src1_sel:DWORD
	v_lshrrev_b32_e32 v4, 4, v7
	v_lshlrev_b32_e32 v5, 4, v7
	v_bfe_u32 v7, v1, 22, 4
	v_or_b32_sdwa v7, v5, v7 dst_sel:BYTE_1 dst_unused:UNUSED_PAD src0_sel:DWORD src1_sel:DWORD
	v_lshrrev_b32_e32 v10, 14, v1
	v_lshrrev_b32_sdwa v9, v9, v1 dst_sel:BYTE_1 dst_unused:UNUSED_PAD src0_sel:DWORD src1_sel:DWORD
	v_lshlrev_b32_e32 v1, 2, v1
	v_bfe_u32 v5, v6, 24, 2
	v_or_b32_e32 v1, v1, v5
	v_lshrrev_b32_e32 v5, 16, v6
	v_lshlrev_b16_e32 v5, 8, v5
	v_lshrrev_b32_e32 v11, 8, v6
	v_or_b32_sdwa v1, v1, v5 dst_sel:DWORD dst_unused:UNUSED_PAD src0_sel:BYTE_0 src1_sel:DWORD
	v_lshlrev_b16_e32 v5, 8, v6
	s_lshr_b32 s0, s2, 10
	s_lshr_b32 s1, s2, 2
	s_lshl_b32 s2, s2, 6
	v_or_b32_sdwa v5, v11, v5 dst_sel:WORD_1 dst_unused:UNUSED_PAD src0_sel:BYTE_0 src1_sel:DWORD
	v_or_b32_e32 v3, s2, v3
	v_or_b32_sdwa v5, v1, v5 dst_sel:DWORD dst_unused:UNUSED_PAD src0_sel:WORD_0 src1_sel:DWORD
	v_or_b32_sdwa v1, v4, v7 dst_sel:DWORD dst_unused:UNUSED_PAD src0_sel:BYTE_0 src1_sel:DWORD
	v_or_b32_sdwa v4, v10, v9 dst_sel:WORD_1 dst_unused:UNUSED_PAD src0_sel:BYTE_0 src1_sel:DWORD
	v_or_b32_sdwa v4, v1, v4 dst_sel:DWORD dst_unused:UNUSED_PAD src0_sel:WORD_0 src1_sel:DWORD
	v_or_b32_sdwa v1, v3, v8 dst_sel:WORD_1 dst_unused:UNUSED_PAD src0_sel:BYTE_0 src1_sel:DWORD
	v_lshlrev_b16_e64 v3, 8, s1
	v_or_b32_sdwa v3, s0, v3 dst_sel:DWORD dst_unused:UNUSED_PAD src0_sel:BYTE_0 src1_sel:DWORD
	v_or_b32_sdwa v3, v3, v1 dst_sel:DWORD dst_unused:UNUSED_PAD src0_sel:WORD_0 src1_sel:DWORD
	global_store_dwordx4 v0, v[2:5], s[90:91] offset:16
	s_endpgm
	.section	.rodata,"a",@progbits
	.p2align	6, 0x0
	.amdhsa_kernel _Z9secp256k1PK20secp256k1_ge_storagePh
		.amdhsa_group_segment_fixed_size 0
		.amdhsa_private_segment_fixed_size 0
		.amdhsa_kernarg_size 16
		.amdhsa_user_sgpr_count 6
		.amdhsa_user_sgpr_private_segment_buffer 1
		.amdhsa_user_sgpr_dispatch_ptr 0
		.amdhsa_user_sgpr_queue_ptr 0
		.amdhsa_user_sgpr_kernarg_segment_ptr 1
		.amdhsa_user_sgpr_dispatch_id 0
		.amdhsa_user_sgpr_flat_scratch_init 0
		.amdhsa_user_sgpr_kernarg_preload_length 0
		.amdhsa_user_sgpr_kernarg_preload_offset 0
		.amdhsa_user_sgpr_private_segment_size 0
		.amdhsa_uses_dynamic_stack 0
		.amdhsa_system_sgpr_private_segment_wavefront_offset 0
		.amdhsa_system_sgpr_workgroup_id_x 1
		.amdhsa_system_sgpr_workgroup_id_y 0
		.amdhsa_system_sgpr_workgroup_id_z 0
		.amdhsa_system_sgpr_workgroup_info 0
		.amdhsa_system_vgpr_workitem_id 0
		.amdhsa_next_free_vgpr 16
		.amdhsa_next_free_sgpr 96
		.amdhsa_accum_offset 16
		.amdhsa_reserve_vcc 1
		.amdhsa_reserve_flat_scratch 0
		.amdhsa_float_round_mode_32 0
		.amdhsa_float_round_mode_16_64 0
		.amdhsa_float_denorm_mode_32 3
		.amdhsa_float_denorm_mode_16_64 3
		.amdhsa_dx10_clamp 1
		.amdhsa_ieee_mode 1
		.amdhsa_fp16_overflow 0
		.amdhsa_tg_split 0
		.amdhsa_exception_fp_ieee_invalid_op 0
		.amdhsa_exception_fp_denorm_src 0
		.amdhsa_exception_fp_ieee_div_zero 0
		.amdhsa_exception_fp_ieee_overflow 0
		.amdhsa_exception_fp_ieee_underflow 0
		.amdhsa_exception_fp_ieee_inexact 0
		.amdhsa_exception_int_div_zero 0
	.end_amdhsa_kernel
	.text
.Lfunc_end0:
	.size	_Z9secp256k1PK20secp256k1_ge_storagePh, .Lfunc_end0-_Z9secp256k1PK20secp256k1_ge_storagePh
                                        ; -- End function
	.section	.AMDGPU.csdata,"",@progbits
; Kernel info:
; codeLenInByte = 91344
; NumSgprs: 100
; NumVgprs: 16
; NumAgprs: 0
; TotalNumVgprs: 16
; ScratchSize: 0
; MemoryBound: 0
; FloatMode: 240
; IeeeMode: 1
; LDSByteSize: 0 bytes/workgroup (compile time only)
; SGPRBlocks: 12
; VGPRBlocks: 1
; NumSGPRsForWavesPerEU: 100
; NumVGPRsForWavesPerEU: 16
; AccumOffset: 16
; Occupancy: 8
; WaveLimiterHint : 0
; COMPUTE_PGM_RSRC2:SCRATCH_EN: 0
; COMPUTE_PGM_RSRC2:USER_SGPR: 6
; COMPUTE_PGM_RSRC2:TRAP_HANDLER: 0
; COMPUTE_PGM_RSRC2:TGID_X_EN: 1
; COMPUTE_PGM_RSRC2:TGID_Y_EN: 0
; COMPUTE_PGM_RSRC2:TGID_Z_EN: 0
; COMPUTE_PGM_RSRC2:TIDIG_COMP_CNT: 0
; COMPUTE_PGM_RSRC3_GFX90A:ACCUM_OFFSET: 3
; COMPUTE_PGM_RSRC3_GFX90A:TG_SPLIT: 0
	.text
	.p2alignl 6, 3212836864
	.fill 256, 4, 3212836864
	.type	__hip_cuid_735a6863935661a7,@object ; @__hip_cuid_735a6863935661a7
	.section	.bss,"aw",@nobits
	.globl	__hip_cuid_735a6863935661a7
__hip_cuid_735a6863935661a7:
	.byte	0                               ; 0x0
	.size	__hip_cuid_735a6863935661a7, 1

	.ident	"AMD clang version 19.0.0git (https://github.com/RadeonOpenCompute/llvm-project roc-6.4.0 25133 c7fe45cf4b819c5991fe208aaa96edf142730f1d)"
	.section	".note.GNU-stack","",@progbits
	.addrsig
	.addrsig_sym __hip_cuid_735a6863935661a7
	.amdgpu_metadata
---
amdhsa.kernels:
  - .agpr_count:     0
    .args:
      - .address_space:  global
        .offset:         0
        .size:           8
        .value_kind:     global_buffer
      - .address_space:  global
        .offset:         8
        .size:           8
        .value_kind:     global_buffer
    .group_segment_fixed_size: 0
    .kernarg_segment_align: 8
    .kernarg_segment_size: 16
    .language:       OpenCL C
    .language_version:
      - 2
      - 0
    .max_flat_workgroup_size: 1024
    .name:           _Z9secp256k1PK20secp256k1_ge_storagePh
    .private_segment_fixed_size: 0
    .sgpr_count:     100
    .sgpr_spill_count: 111
    .symbol:         _Z9secp256k1PK20secp256k1_ge_storagePh.kd
    .uniform_work_group_size: 1
    .uses_dynamic_stack: false
    .vgpr_count:     16
    .vgpr_spill_count: 0
    .wavefront_size: 64
amdhsa.target:   amdgcn-amd-amdhsa--gfx90a
amdhsa.version:
  - 1
  - 2
...

	.end_amdgpu_metadata
